;; amdgpu-corpus repo=ROCm/rocFFT kind=compiled arch=gfx950 opt=O3
	.text
	.amdgcn_target "amdgcn-amd-amdhsa--gfx950"
	.amdhsa_code_object_version 6
	.protected	bluestein_single_fwd_len858_dim1_sp_op_CI_CI ; -- Begin function bluestein_single_fwd_len858_dim1_sp_op_CI_CI
	.globl	bluestein_single_fwd_len858_dim1_sp_op_CI_CI
	.p2align	8
	.type	bluestein_single_fwd_len858_dim1_sp_op_CI_CI,@function
bluestein_single_fwd_len858_dim1_sp_op_CI_CI: ; @bluestein_single_fwd_len858_dim1_sp_op_CI_CI
; %bb.0:
	s_load_dwordx4 s[12:15], s[0:1], 0x28
	v_mul_u32_u24_e32 v1, 0x349, v0
	v_lshrrev_b32_e32 v2, 16, v1
	v_mad_u64_u32 v[60:61], s[2:3], s2, 3, v[2:3]
	v_mov_b32_e32 v61, 0
	s_waitcnt lgkmcnt(0)
	v_cmp_gt_u64_e32 vcc, s[12:13], v[60:61]
	s_and_saveexec_b64 s[2:3], vcc
	s_cbranch_execz .LBB0_25
; %bb.1:
	v_mul_lo_u16_e32 v1, 0x4e, v2
	s_mov_b32 s2, 0xaaaaaaab
	v_sub_u16_e32 v61, v0, v1
	v_mul_hi_u32 v0, v60, s2
	s_load_dwordx2 s[12:13], s[0:1], 0x0
	s_load_dwordx2 s[16:17], s[0:1], 0x38
	v_lshrrev_b32_e32 v0, 1, v0
	v_lshl_add_u32 v0, v0, 1, v0
	v_sub_u32_e32 v0, v60, v0
	v_mul_u32_u24_e32 v106, 0x35a, v0
	s_movk_i32 s2, 0x42
	v_cmp_gt_u16_e64 s[6:7], s2, v61
	v_lshlrev_b32_e32 v62, 3, v61
	v_lshlrev_b32_e32 v138, 3, v106
	s_and_saveexec_b64 s[2:3], s[6:7]
	s_cbranch_execz .LBB0_3
; %bb.2:
	s_load_dwordx2 s[4:5], s[0:1], 0x18
	v_mov_b32_e32 v0, s14
	v_mov_b32_e32 v1, s15
	;; [unrolled: 1-line block ×4, first 2 shown]
	s_waitcnt lgkmcnt(0)
	s_load_dwordx4 s[8:11], s[4:5], 0x0
	s_waitcnt lgkmcnt(0)
	v_mad_u64_u32 v[2:3], s[4:5], s10, v60, 0
	v_mad_u64_u32 v[4:5], s[4:5], s8, v61, 0
	v_mov_b32_e32 v6, v3
	v_mov_b32_e32 v8, v5
	v_mad_u64_u32 v[6:7], s[4:5], s11, v60, v[6:7]
	v_mov_b32_e32 v3, v6
	v_mad_u64_u32 v[6:7], s[4:5], s9, v61, v[8:9]
	v_mov_b32_e32 v5, v6
	v_lshl_add_u64 v[0:1], v[2:3], 3, v[0:1]
	v_lshl_add_u64 v[0:1], v[4:5], 3, v[0:1]
	global_load_dwordx2 v[2:3], v[0:1], off
	v_mad_u64_u32 v[0:1], s[4:5], s8, v52, v[0:1]
	s_mulk_i32 s9, 0x210
	v_add_u32_e32 v1, s9, v1
	v_mad_u64_u32 v[6:7], s[4:5], s8, v52, v[0:1]
	v_add_u32_e32 v7, s9, v7
	v_mad_u64_u32 v[14:15], s[4:5], s8, v52, v[6:7]
	;; [unrolled: 2-line block ×3, first 2 shown]
	v_add_u32_e32 v17, s9, v17
	global_load_dwordx2 v[8:9], v62, s[12:13]
	global_load_dwordx2 v[10:11], v62, s[12:13] offset:528
	global_load_dwordx2 v[12:13], v62, s[12:13] offset:1056
	v_lshl_add_u64 v[4:5], s[12:13], 0, v[62:63]
	global_load_dwordx2 v[0:1], v[0:1], off
	s_nop 0
	global_load_dwordx2 v[18:19], v[6:7], off
	global_load_dwordx2 v[20:21], v[14:15], off
	;; [unrolled: 1-line block ×3, first 2 shown]
	v_mad_u64_u32 v[6:7], s[4:5], s8, v52, v[16:17]
	v_add_u32_e32 v7, s9, v7
	global_load_dwordx2 v[14:15], v62, s[12:13] offset:1584
	global_load_dwordx2 v[16:17], v[6:7], off
	global_load_dwordx2 v[24:25], v62, s[12:13] offset:2112
	v_mad_u64_u32 v[6:7], s[4:5], s8, v52, v[6:7]
	v_add_u32_e32 v7, s9, v7
	global_load_dwordx2 v[26:27], v[6:7], off
	global_load_dwordx2 v[28:29], v62, s[12:13] offset:2640
	global_load_dwordx2 v[30:31], v62, s[12:13] offset:3168
	v_mad_u64_u32 v[6:7], s[4:5], s8, v52, v[6:7]
	v_add_u32_e32 v7, s9, v7
	global_load_dwordx2 v[32:33], v[6:7], off
	global_load_dwordx2 v[34:35], v62, s[12:13] offset:3696
	v_mad_u64_u32 v[6:7], s[4:5], s8, v52, v[6:7]
	v_add_u32_e32 v7, s9, v7
	s_movk_i32 s4, 0x1000
	global_load_dwordx2 v[36:37], v[6:7], off
	v_add_co_u32_e32 v4, vcc, s4, v4
	v_mad_u64_u32 v[6:7], s[4:5], s8, v52, v[6:7]
	s_nop 0
	v_addc_co_u32_e32 v5, vcc, 0, v5, vcc
	v_add_u32_e32 v7, s9, v7
	global_load_dwordx2 v[38:39], v[4:5], off offset:128
	global_load_dwordx2 v[40:41], v[6:7], off
	global_load_dwordx2 v[42:43], v[4:5], off offset:656
	v_mad_u64_u32 v[6:7], s[4:5], s8, v52, v[6:7]
	v_add_u32_e32 v7, s9, v7
	global_load_dwordx2 v[44:45], v[6:7], off
	global_load_dwordx2 v[46:47], v[4:5], off offset:1184
	v_mad_u64_u32 v[6:7], s[4:5], s8, v52, v[6:7]
	v_add_u32_e32 v7, s9, v7
	;; [unrolled: 4-line block ×3, first 2 shown]
	global_load_dwordx2 v[52:53], v[4:5], off offset:2240
	global_load_dwordx2 v[54:55], v[6:7], off
	v_lshl_add_u32 v6, v61, 3, v138
	v_add_u32_e32 v7, v138, v62
	s_waitcnt vmcnt(24)
	v_mul_f32_e32 v4, v3, v9
	v_mul_f32_e32 v5, v2, v9
	v_fmac_f32_e32 v4, v2, v8
	v_fma_f32 v5, v3, v8, -v5
	s_waitcnt vmcnt(21)
	v_mul_f32_e32 v2, v1, v11
	v_mul_f32_e32 v3, v0, v11
	v_fmac_f32_e32 v2, v0, v10
	v_fma_f32 v3, v1, v10, -v3
	;; [unrolled: 5-line block ×3, first 2 shown]
	ds_write_b64 v6, v[4:5]
	ds_write2_b64 v7, v[2:3], v[0:1] offset0:66 offset1:132
	s_waitcnt vmcnt(17)
	v_mul_f32_e32 v0, v21, v15
	v_mul_f32_e32 v1, v20, v15
	s_waitcnt vmcnt(15)
	v_mul_f32_e32 v2, v23, v25
	v_mul_f32_e32 v3, v22, v25
	v_fmac_f32_e32 v0, v20, v14
	v_fma_f32 v1, v21, v14, -v1
	v_fmac_f32_e32 v2, v22, v24
	v_fma_f32 v3, v23, v24, -v3
	v_add_u32_e32 v4, 0x400, v7
	ds_write2_b64 v4, v[0:1], v[2:3] offset0:70 offset1:136
	s_waitcnt vmcnt(13)
	v_mul_f32_e32 v0, v17, v29
	v_mul_f32_e32 v1, v16, v29
	s_waitcnt vmcnt(12)
	v_mul_f32_e32 v2, v27, v31
	v_mul_f32_e32 v3, v26, v31
	v_fmac_f32_e32 v0, v16, v28
	v_fma_f32 v1, v17, v28, -v1
	v_fmac_f32_e32 v2, v26, v30
	v_fma_f32 v3, v27, v30, -v3
	v_add_u32_e32 v4, 0x800, v7
	;; [unrolled: 12-line block ×5, first 2 shown]
	ds_write2_b64 v4, v[0:1], v[2:3] offset0:86 offset1:152
.LBB0_3:
	s_or_b64 exec, exec, s[2:3]
	s_load_dwordx2 s[2:3], s[0:1], 0x20
	s_load_dwordx2 s[14:15], s[0:1], 0x8
	v_mov_b64_e32 v[0:1], 0
	s_waitcnt lgkmcnt(0)
	s_barrier
	s_waitcnt lgkmcnt(0)
                                        ; implicit-def: $vgpr6
                                        ; implicit-def: $vgpr12
                                        ; implicit-def: $vgpr10
                                        ; implicit-def: $vgpr20
                                        ; implicit-def: $vgpr18
                                        ; implicit-def: $vgpr50
	s_and_saveexec_b64 s[0:1], s[6:7]
	s_cbranch_execz .LBB0_5
; %bb.4:
	v_lshl_add_u32 v24, v106, 3, v62
	v_add_u32_e32 v4, 0x800, v24
	v_add_u32_e32 v20, 0x1000, v24
	ds_read2_b64 v[0:3], v24 offset1:66
	ds_read2_b64 v[16:19], v24 offset0:132 offset1:198
	ds_read2_b64 v[8:11], v4 offset0:8 offset1:74
	;; [unrolled: 1-line block ×5, first 2 shown]
	ds_read_b64 v[50:51], v24 offset:6336
.LBB0_5:
	s_or_b64 exec, exec, s[0:1]
	s_waitcnt lgkmcnt(0)
	v_pk_add_f32 v[44:45], v[2:3], v[50:51] neg_lo:[0,1] neg_hi:[0,1]
	s_mov_b32 s0, 0xbeedf032
	v_pk_add_f32 v[42:43], v[50:51], v[2:3]
	v_pk_add_f32 v[40:41], v[16:17], v[22:23] neg_lo:[0,1] neg_hi:[0,1]
	s_mov_b32 s10, 0x3f62ad3f
	v_pk_mul_f32 v[38:39], v[44:45], s[0:1] op_sel_hi:[1,0]
	s_mov_b32 s26, 0xbf52af12
	v_pk_add_f32 v[36:37], v[22:23], v[16:17]
	v_pk_fma_f32 v[52:53], v[42:43], s[10:11], v[38:39] op_sel:[0,0,1] op_sel_hi:[1,0,0]
	v_pk_fma_f32 v[54:55], v[42:43], s[10:11], v[38:39] op_sel:[0,0,1] op_sel_hi:[1,0,0] neg_lo:[0,0,1] neg_hi:[0,0,1]
	s_mov_b32 s8, 0x3f116cb1
	v_pk_mul_f32 v[46:47], v[40:41], s[26:27] op_sel_hi:[1,0]
	v_mov_b32_e32 v38, v52
	v_mov_b32_e32 v39, v55
	v_pk_fma_f32 v[56:57], v[36:37], s[8:9], v[46:47] op_sel:[0,0,1] op_sel_hi:[1,0,0]
	v_pk_fma_f32 v[58:59], v[36:37], s[8:9], v[46:47] op_sel:[0,0,1] op_sel_hi:[1,0,0] neg_lo:[0,0,1] neg_hi:[0,0,1]
	v_pk_add_f32 v[34:35], v[18:19], v[20:21] neg_lo:[0,1] neg_hi:[0,1]
	v_pk_add_f32 v[38:39], v[38:39], v[0:1]
	v_mov_b32_e32 v46, v56
	v_mov_b32_e32 v47, v59
	s_mov_b32 s36, 0xbf7e222b
	v_pk_add_f32 v[32:33], v[20:21], v[18:19]
	v_pk_add_f32 v[38:39], v[46:47], v[38:39]
	s_mov_b32 s4, 0x3df6dbef
	v_pk_mul_f32 v[46:47], v[34:35], s[36:37] op_sel_hi:[1,0]
	v_pk_add_f32 v[30:31], v[8:9], v[14:15] neg_lo:[0,1] neg_hi:[0,1]
	v_pk_fma_f32 v[66:67], v[32:33], s[4:5], v[46:47] op_sel:[0,0,1] op_sel_hi:[1,0,0]
	v_pk_fma_f32 v[68:69], v[32:33], s[4:5], v[46:47] op_sel:[0,0,1] op_sel_hi:[1,0,0] neg_lo:[0,0,1] neg_hi:[0,0,1]
	v_mov_b32_e32 v46, v66
	v_mov_b32_e32 v47, v69
	s_mov_b32 s20, 0xbf6f5d39
	v_pk_add_f32 v[28:29], v[14:15], v[8:9]
	v_pk_add_f32 v[38:39], v[46:47], v[38:39]
	s_mov_b32 s18, 0xbeb58ec6
	v_pk_mul_f32 v[46:47], v[30:31], s[20:21] op_sel_hi:[1,0]
	v_pk_add_f32 v[26:27], v[10:11], v[12:13] neg_lo:[0,1] neg_hi:[0,1]
	v_pk_fma_f32 v[70:71], v[28:29], s[18:19], v[46:47] op_sel:[0,0,1] op_sel_hi:[1,0,0]
	v_pk_fma_f32 v[72:73], v[28:29], s[18:19], v[46:47] op_sel:[0,0,1] op_sel_hi:[1,0,0] neg_lo:[0,0,1] neg_hi:[0,0,1]
	v_mov_b32_e32 v46, v70
	v_mov_b32_e32 v47, v73
	s_mov_b32 s24, 0xbf29c268
	v_pk_add_f32 v[24:25], v[12:13], v[10:11]
	v_pk_add_f32 v[38:39], v[46:47], v[38:39]
	s_mov_b32 s22, 0xbf3f9e67
	v_pk_mul_f32 v[46:47], v[26:27], s[24:25] op_sel_hi:[1,0]
	s_mov_b32 s30, 0xbe750f2a
	v_pk_fma_f32 v[74:75], v[24:25], s[22:23], v[46:47] op_sel:[0,0,1] op_sel_hi:[1,0,0]
	v_pk_fma_f32 v[76:77], v[24:25], s[22:23], v[46:47] op_sel:[0,0,1] op_sel_hi:[1,0,0] neg_lo:[0,0,1] neg_hi:[0,0,1]
	v_mov_b32_e32 v46, v74
	v_mov_b32_e32 v47, v77
	v_pk_add_f32 v[48:49], v[4:5], v[6:7] neg_lo:[0,1] neg_hi:[0,1]
	v_pk_add_f32 v[38:39], v[46:47], v[38:39]
	s_mov_b32 s28, 0xbf788fa5
	v_pk_add_f32 v[46:47], v[6:7], v[4:5]
	v_pk_mul_f32 v[64:65], v[48:49], s[30:31] op_sel_hi:[1,0]
	v_pk_mul_f32 v[84:85], v[40:41], s[20:21] op_sel_hi:[1,0]
	v_pk_fma_f32 v[86:87], v[46:47], s[28:29], v[64:65] op_sel:[0,0,1] op_sel_hi:[1,0,0]
	v_pk_fma_f32 v[88:89], v[46:47], s[28:29], v[64:65] op_sel:[0,0,1] op_sel_hi:[1,0,0] neg_lo:[0,0,1] neg_hi:[0,0,1]
	v_mov_b32_e32 v64, v86
	v_mov_b32_e32 v65, v89
	v_pk_add_f32 v[64:65], v[64:65], v[38:39]
	v_pk_mul_f32 v[38:39], v[44:45], s[26:27] op_sel_hi:[1,0]
	v_pk_fma_f32 v[82:83], v[36:37], s[18:19], v[84:85] op_sel:[0,0,1] op_sel_hi:[1,0,0]
	v_pk_fma_f32 v[78:79], v[42:43], s[8:9], v[38:39] op_sel:[0,0,1] op_sel_hi:[1,0,0]
	v_pk_fma_f32 v[80:81], v[42:43], s[8:9], v[38:39] op_sel:[0,0,1] op_sel_hi:[1,0,0] neg_lo:[0,0,1] neg_hi:[0,0,1]
	v_mov_b32_e32 v38, v78
	v_mov_b32_e32 v39, v81
	v_pk_fma_f32 v[84:85], v[36:37], s[18:19], v[84:85] op_sel:[0,0,1] op_sel_hi:[1,0,0] neg_lo:[0,0,1] neg_hi:[0,0,1]
	v_mov_b32_e32 v90, v82
	v_mov_b32_e32 v91, v85
	v_pk_add_f32 v[38:39], v[38:39], v[0:1]
	v_pk_mul_f32 v[92:93], v[34:35], s[30:31] op_sel_hi:[1,0]
	v_pk_add_f32 v[38:39], v[90:91], v[38:39]
	v_pk_fma_f32 v[90:91], v[32:33], s[28:29], v[92:93] op_sel:[0,0,1] op_sel_hi:[1,0,0]
	v_pk_fma_f32 v[92:93], v[32:33], s[28:29], v[92:93] op_sel:[0,0,1] op_sel_hi:[1,0,0] neg_lo:[0,0,1] neg_hi:[0,0,1]
	s_mov_b32 s40, 0x3f29c268
	v_mov_b32_e32 v94, v90
	v_mov_b32_e32 v95, v93
	v_pk_mul_f32 v[96:97], v[30:31], s[40:41] op_sel_hi:[1,0]
	v_pk_add_f32 v[38:39], v[94:95], v[38:39]
	v_pk_fma_f32 v[94:95], v[28:29], s[22:23], v[96:97] op_sel:[0,0,1] op_sel_hi:[1,0,0]
	v_pk_fma_f32 v[96:97], v[28:29], s[22:23], v[96:97] op_sel:[0,0,1] op_sel_hi:[1,0,0] neg_lo:[0,0,1] neg_hi:[0,0,1]
	s_mov_b32 s34, 0x3f7e222b
	v_mov_b32_e32 v98, v94
	v_mov_b32_e32 v99, v97
	;; [unrolled: 7-line block ×3, first 2 shown]
	v_pk_mul_f32 v[104:105], v[48:49], s[38:39] op_sel_hi:[1,0]
	v_pk_add_f32 v[38:39], v[102:103], v[38:39]
	v_pk_fma_f32 v[102:103], v[46:47], s[10:11], v[104:105] op_sel:[0,0,1] op_sel_hi:[1,0,0]
	v_pk_fma_f32 v[104:105], v[46:47], s[10:11], v[104:105] op_sel:[0,0,1] op_sel_hi:[1,0,0] neg_lo:[0,0,1] neg_hi:[0,0,1]
	v_mov_b32_e32 v108, v102
	v_mov_b32_e32 v109, v105
	v_pk_add_f32 v[38:39], v[108:109], v[38:39]
	v_mul_lo_u16_e32 v142, 13, v61
	s_barrier
	s_and_saveexec_b64 s[0:1], s[6:7]
	s_cbranch_execz .LBB0_7
; %bb.6:
	v_pk_add_f32 v[2:3], v[2:3], v[0:1]
	v_mov_b32_e32 v55, v53
	v_pk_add_f32 v[2:3], v[16:17], v[2:3]
	v_mov_b32_e32 v59, v57
	;; [unrolled: 2-line block ×5, first 2 shown]
	v_pk_add_f32 v[2:3], v[4:5], v[2:3]
	v_pk_add_f32 v[4:5], v[54:55], v[0:1]
	;; [unrolled: 1-line block ×11, first 2 shown]
	v_mov_b32_e32 v89, v87
	v_add_lshl_u32 v63, v106, v142, 3
	v_pk_add_f32 v[2:3], v[50:51], v[2:3]
	v_pk_add_f32 v[4:5], v[88:89], v[4:5]
	ds_write2_b64 v63, v[2:3], v[4:5] offset1:1
	v_pk_mul_f32 v[4:5], v[44:45], s[36:37] op_sel_hi:[1,0]
	v_pk_mul_f32 v[10:11], v[40:41], s[30:31] op_sel_hi:[1,0]
	v_pk_fma_f32 v[6:7], v[42:43], s[4:5], v[4:5] op_sel:[0,0,1] op_sel_hi:[1,0,0] neg_lo:[0,0,1] neg_hi:[0,0,1]
	v_pk_fma_f32 v[4:5], v[42:43], s[4:5], v[4:5] op_sel:[0,0,1] op_sel_hi:[1,0,0]
	v_mov_b32_e32 v8, v6
	v_mov_b32_e32 v9, v5
	v_pk_fma_f32 v[12:13], v[36:37], s[28:29], v[10:11] op_sel:[0,0,1] op_sel_hi:[1,0,0] neg_lo:[0,0,1] neg_hi:[0,0,1]
	v_pk_fma_f32 v[10:11], v[36:37], s[28:29], v[10:11] op_sel:[0,0,1] op_sel_hi:[1,0,0]
	v_pk_add_f32 v[8:9], v[8:9], v[0:1]
	v_mov_b32_e32 v14, v12
	v_mov_b32_e32 v15, v11
	s_mov_b32 s42, 0x3f6f5d39
	v_pk_add_f32 v[8:9], v[14:15], v[8:9]
	v_pk_mul_f32 v[14:15], v[34:35], s[42:43] op_sel_hi:[1,0]
	v_mov_b32_e32 v81, v79
	v_pk_fma_f32 v[16:17], v[32:33], s[18:19], v[14:15] op_sel:[0,0,1] op_sel_hi:[1,0,0] neg_lo:[0,0,1] neg_hi:[0,0,1]
	v_pk_fma_f32 v[14:15], v[32:33], s[18:19], v[14:15] op_sel:[0,0,1] op_sel_hi:[1,0,0]
	v_mov_b32_e32 v18, v16
	v_mov_b32_e32 v19, v15
	v_pk_add_f32 v[8:9], v[18:19], v[8:9]
	v_pk_mul_f32 v[18:19], v[30:31], s[38:39] op_sel_hi:[1,0]
	v_pk_add_f32 v[2:3], v[80:81], v[0:1]
	v_pk_fma_f32 v[20:21], v[28:29], s[10:11], v[18:19] op_sel:[0,0,1] op_sel_hi:[1,0,0] neg_lo:[0,0,1] neg_hi:[0,0,1]
	v_pk_fma_f32 v[18:19], v[28:29], s[10:11], v[18:19] op_sel:[0,0,1] op_sel_hi:[1,0,0]
	v_mov_b32_e32 v22, v20
	v_mov_b32_e32 v23, v19
	v_pk_add_f32 v[8:9], v[22:23], v[8:9]
	v_pk_mul_f32 v[22:23], v[26:27], s[26:27] op_sel_hi:[1,0]
	v_mov_b32_e32 v85, v83
	v_pk_fma_f32 v[50:51], v[24:25], s[8:9], v[22:23] op_sel:[0,0,1] op_sel_hi:[1,0,0] neg_lo:[0,0,1] neg_hi:[0,0,1]
	v_pk_fma_f32 v[22:23], v[24:25], s[8:9], v[22:23] op_sel:[0,0,1] op_sel_hi:[1,0,0]
	v_pk_add_f32 v[2:3], v[84:85], v[2:3]
	v_mov_b32_e32 v93, v91
	v_mov_b32_e32 v52, v50
	;; [unrolled: 1-line block ×3, first 2 shown]
	v_pk_add_f32 v[2:3], v[92:93], v[2:3]
	v_mov_b32_e32 v97, v95
	v_pk_add_f32 v[8:9], v[52:53], v[8:9]
	v_pk_mul_f32 v[52:53], v[48:49], s[24:25] op_sel_hi:[1,0]
	v_pk_add_f32 v[2:3], v[96:97], v[2:3]
	v_mov_b32_e32 v101, v99
	v_pk_fma_f32 v[54:55], v[46:47], s[22:23], v[52:53] op_sel:[0,0,1] op_sel_hi:[1,0,0] neg_lo:[0,0,1] neg_hi:[0,0,1]
	v_pk_fma_f32 v[52:53], v[46:47], s[22:23], v[52:53] op_sel:[0,0,1] op_sel_hi:[1,0,0]
	v_pk_add_f32 v[2:3], v[100:101], v[2:3]
	v_mov_b32_e32 v105, v103
	v_mov_b32_e32 v56, v54
	;; [unrolled: 1-line block ×3, first 2 shown]
	v_pk_add_f32 v[2:3], v[104:105], v[2:3]
	v_pk_add_f32 v[8:9], v[56:57], v[8:9]
	ds_write2_b64 v63, v[2:3], v[8:9] offset0:2 offset1:3
	v_pk_mul_f32 v[2:3], v[44:45], s[20:21] op_sel_hi:[1,0]
	v_pk_mul_f32 v[58:59], v[40:41], s[40:41] op_sel_hi:[1,0]
	v_pk_fma_f32 v[8:9], v[42:43], s[18:19], v[2:3] op_sel:[0,0,1] op_sel_hi:[1,0,0] neg_lo:[0,0,1] neg_hi:[0,0,1]
	v_pk_fma_f32 v[2:3], v[42:43], s[18:19], v[2:3] op_sel:[0,0,1] op_sel_hi:[1,0,0]
	v_mov_b32_e32 v56, v8
	v_mov_b32_e32 v57, v3
	v_pk_fma_f32 v[66:67], v[36:37], s[22:23], v[58:59] op_sel:[0,0,1] op_sel_hi:[1,0,0] neg_lo:[0,0,1] neg_hi:[0,0,1]
	v_pk_fma_f32 v[58:59], v[36:37], s[22:23], v[58:59] op_sel:[0,0,1] op_sel_hi:[1,0,0]
	v_pk_add_f32 v[56:57], v[56:57], v[0:1]
	v_mov_b32_e32 v68, v66
	v_mov_b32_e32 v69, v59
	v_pk_add_f32 v[56:57], v[68:69], v[56:57]
	v_pk_mul_f32 v[68:69], v[34:35], s[38:39] op_sel_hi:[1,0]
	s_mov_b32 s40, 0x3f52af12
	v_pk_fma_f32 v[70:71], v[32:33], s[10:11], v[68:69] op_sel:[0,0,1] op_sel_hi:[1,0,0] neg_lo:[0,0,1] neg_hi:[0,0,1]
	v_pk_fma_f32 v[68:69], v[32:33], s[10:11], v[68:69] op_sel:[0,0,1] op_sel_hi:[1,0,0]
	v_mov_b32_e32 v72, v70
	v_mov_b32_e32 v73, v69
	v_pk_add_f32 v[56:57], v[72:73], v[56:57]
	v_pk_mul_f32 v[72:73], v[30:31], s[36:37] op_sel_hi:[1,0]
	s_mov_b32 s36, 0x3e750f2a
	v_pk_fma_f32 v[74:75], v[28:29], s[4:5], v[72:73] op_sel:[0,0,1] op_sel_hi:[1,0,0] neg_lo:[0,0,1] neg_hi:[0,0,1]
	v_pk_fma_f32 v[72:73], v[28:29], s[4:5], v[72:73] op_sel:[0,0,1] op_sel_hi:[1,0,0]
	v_mov_b32_e32 v76, v74
	v_mov_b32_e32 v77, v73
	v_pk_add_f32 v[56:57], v[76:77], v[56:57]
	v_pk_mul_f32 v[76:77], v[26:27], s[36:37] op_sel_hi:[1,0]
	v_pk_mul_f32 v[90:91], v[40:41], s[34:35] op_sel_hi:[1,0]
	v_pk_fma_f32 v[78:79], v[24:25], s[28:29], v[76:77] op_sel:[0,0,1] op_sel_hi:[1,0,0] neg_lo:[0,0,1] neg_hi:[0,0,1]
	v_pk_fma_f32 v[76:77], v[24:25], s[28:29], v[76:77] op_sel:[0,0,1] op_sel_hi:[1,0,0]
	v_mov_b32_e32 v80, v78
	v_mov_b32_e32 v81, v77
	v_pk_add_f32 v[56:57], v[80:81], v[56:57]
	v_pk_mul_f32 v[80:81], v[48:49], s[40:41] op_sel_hi:[1,0]
	v_pk_fma_f32 v[92:93], v[36:37], s[4:5], v[90:91] op_sel:[0,0,1] op_sel_hi:[1,0,0] neg_lo:[0,0,1] neg_hi:[0,0,1]
	v_pk_fma_f32 v[82:83], v[46:47], s[8:9], v[80:81] op_sel:[0,0,1] op_sel_hi:[1,0,0] neg_lo:[0,0,1] neg_hi:[0,0,1]
	v_pk_fma_f32 v[80:81], v[46:47], s[8:9], v[80:81] op_sel:[0,0,1] op_sel_hi:[1,0,0]
	v_mov_b32_e32 v84, v82
	v_mov_b32_e32 v85, v81
	v_pk_add_f32 v[56:57], v[84:85], v[56:57]
	v_pk_mul_f32 v[84:85], v[44:45], s[24:25] op_sel_hi:[1,0]
	v_pk_fma_f32 v[90:91], v[36:37], s[4:5], v[90:91] op_sel:[0,0,1] op_sel_hi:[1,0,0]
	v_pk_fma_f32 v[86:87], v[42:43], s[22:23], v[84:85] op_sel:[0,0,1] op_sel_hi:[1,0,0] neg_lo:[0,0,1] neg_hi:[0,0,1]
	v_pk_fma_f32 v[84:85], v[42:43], s[22:23], v[84:85] op_sel:[0,0,1] op_sel_hi:[1,0,0]
	v_mov_b32_e32 v88, v86
	v_mov_b32_e32 v89, v85
	v_pk_add_f32 v[88:89], v[88:89], v[0:1]
	v_mov_b32_e32 v94, v92
	v_mov_b32_e32 v95, v91
	v_pk_add_f32 v[88:89], v[94:95], v[88:89]
	v_pk_mul_f32 v[94:95], v[34:35], s[26:27] op_sel_hi:[1,0]
	v_pk_mul_f32 v[44:45], v[44:45], s[30:31] op_sel_hi:[1,0]
	v_pk_fma_f32 v[96:97], v[32:33], s[8:9], v[94:95] op_sel:[0,0,1] op_sel_hi:[1,0,0] neg_lo:[0,0,1] neg_hi:[0,0,1]
	v_pk_fma_f32 v[94:95], v[32:33], s[8:9], v[94:95] op_sel:[0,0,1] op_sel_hi:[1,0,0]
	v_mov_b32_e32 v98, v96
	v_mov_b32_e32 v99, v95
	v_pk_add_f32 v[88:89], v[98:99], v[88:89]
	v_pk_mul_f32 v[98:99], v[30:31], s[36:37] op_sel_hi:[1,0]
	v_pk_mul_f32 v[40:41], v[40:41], s[38:39] op_sel_hi:[1,0]
	v_pk_fma_f32 v[100:101], v[28:29], s[28:29], v[98:99] op_sel:[0,0,1] op_sel_hi:[1,0,0] neg_lo:[0,0,1] neg_hi:[0,0,1]
	v_pk_fma_f32 v[98:99], v[28:29], s[28:29], v[98:99] op_sel:[0,0,1] op_sel_hi:[1,0,0]
	;; [unrolled: 7-line block ×4, first 2 shown]
	v_mov_b32_e32 v112, v110
	v_mov_b32_e32 v113, v109
	v_pk_add_f32 v[88:89], v[112:113], v[88:89]
	ds_write2_b64 v63, v[56:57], v[88:89] offset0:4 offset1:5
	v_pk_fma_f32 v[56:57], v[42:43], s[28:29], v[44:45] op_sel:[0,0,1] op_sel_hi:[1,0,0] neg_lo:[0,0,1] neg_hi:[0,0,1]
	v_pk_fma_f32 v[42:43], v[42:43], s[28:29], v[44:45] op_sel:[0,0,1] op_sel_hi:[1,0,0]
	v_pk_fma_f32 v[44:45], v[36:37], s[10:11], v[40:41] op_sel:[0,0,1] op_sel_hi:[1,0,0] neg_lo:[0,0,1] neg_hi:[0,0,1]
	v_pk_fma_f32 v[36:37], v[36:37], s[10:11], v[40:41] op_sel:[0,0,1] op_sel_hi:[1,0,0]
	v_mov_b32_e32 v40, v56
	v_mov_b32_e32 v41, v43
	v_pk_add_f32 v[40:41], v[40:41], v[0:1]
	v_mov_b32_e32 v88, v44
	v_mov_b32_e32 v89, v37
	v_pk_add_f32 v[40:41], v[88:89], v[40:41]
	v_pk_fma_f32 v[88:89], v[32:33], s[22:23], v[34:35] op_sel:[0,0,1] op_sel_hi:[1,0,0] neg_lo:[0,0,1] neg_hi:[0,0,1]
	v_pk_fma_f32 v[32:33], v[32:33], s[22:23], v[34:35] op_sel:[0,0,1] op_sel_hi:[1,0,0]
	v_mov_b32_e32 v34, v88
	v_mov_b32_e32 v35, v33
	v_pk_add_f32 v[34:35], v[34:35], v[40:41]
	v_pk_fma_f32 v[40:41], v[28:29], s[8:9], v[30:31] op_sel:[0,0,1] op_sel_hi:[1,0,0] neg_lo:[0,0,1] neg_hi:[0,0,1]
	v_pk_fma_f32 v[28:29], v[28:29], s[8:9], v[30:31] op_sel:[0,0,1] op_sel_hi:[1,0,0]
	v_mov_b32_e32 v30, v40
	v_mov_b32_e32 v31, v29
	v_pk_mul_f32 v[26:27], v[26:27], s[20:21] op_sel_hi:[1,0]
	v_mov_b32_e32 v43, v57
	v_pk_add_f32 v[30:31], v[30:31], v[34:35]
	v_pk_fma_f32 v[34:35], v[24:25], s[18:19], v[26:27] op_sel:[0,0,1] op_sel_hi:[1,0,0] neg_lo:[0,0,1] neg_hi:[0,0,1]
	v_pk_fma_f32 v[24:25], v[24:25], s[18:19], v[26:27] op_sel:[0,0,1] op_sel_hi:[1,0,0]
	v_mov_b32_e32 v37, v45
	v_pk_add_f32 v[42:43], v[42:43], v[0:1]
	v_mov_b32_e32 v26, v34
	v_mov_b32_e32 v27, v25
	v_pk_add_f32 v[36:37], v[36:37], v[42:43]
	v_mov_b32_e32 v33, v89
	v_pk_add_f32 v[26:27], v[26:27], v[30:31]
	v_pk_mul_f32 v[30:31], v[48:49], s[34:35] op_sel_hi:[1,0]
	v_pk_add_f32 v[32:33], v[32:33], v[36:37]
	v_mov_b32_e32 v29, v41
	v_pk_fma_f32 v[48:49], v[46:47], s[4:5], v[30:31] op_sel:[0,0,1] op_sel_hi:[1,0,0] neg_lo:[0,0,1] neg_hi:[0,0,1]
	v_pk_fma_f32 v[30:31], v[46:47], s[4:5], v[30:31] op_sel:[0,0,1] op_sel_hi:[1,0,0]
	v_pk_add_f32 v[28:29], v[28:29], v[32:33]
	v_mov_b32_e32 v25, v35
	v_mov_b32_e32 v46, v48
	;; [unrolled: 1-line block ×3, first 2 shown]
	v_pk_add_f32 v[24:25], v[24:25], v[28:29]
	v_mov_b32_e32 v31, v49
	v_pk_add_f32 v[26:27], v[46:47], v[26:27]
	v_pk_add_f32 v[24:25], v[30:31], v[24:25]
	v_mov_b32_e32 v85, v87
	v_mov_b32_e32 v3, v9
	;; [unrolled: 1-line block ×3, first 2 shown]
	ds_write2_b64 v63, v[26:27], v[24:25] offset0:6 offset1:7
	v_pk_add_f32 v[24:25], v[84:85], v[0:1]
	v_mov_b32_e32 v91, v93
	v_pk_add_f32 v[2:3], v[2:3], v[0:1]
	v_mov_b32_e32 v59, v67
	;; [unrolled: 2-line block ×15, first 2 shown]
	v_pk_add_f32 v[24:25], v[108:109], v[24:25]
	v_pk_add_f32 v[2:3], v[80:81], v[2:3]
	;; [unrolled: 1-line block ×3, first 2 shown]
	ds_write2_b64 v63, v[24:25], v[2:3] offset0:8 offset1:9
	ds_write2_b64 v63, v[0:1], v[38:39] offset0:10 offset1:11
	ds_write_b64 v63, v[64:65] offset:96
.LBB0_7:
	s_or_b64 exec, exec, s[0:1]
	s_movk_i32 s0, 0x4f
	v_mul_lo_u16_sdwa v0, v61, s0 dst_sel:DWORD dst_unused:UNUSED_PAD src0_sel:BYTE_0 src1_sel:DWORD
	v_lshrrev_b16_e32 v100, 10, v0
	v_mul_lo_u16_e32 v0, 13, v100
	v_sub_u16_e32 v101, v61, v0
	v_mov_b32_e32 v0, 10
	v_mul_u32_u24_sdwa v0, v101, v0 dst_sel:DWORD dst_unused:UNUSED_PAD src0_sel:BYTE_0 src1_sel:DWORD
	v_lshlrev_b32_e32 v20, 3, v0
	s_load_dwordx4 s[8:11], s[2:3], 0x0
	s_waitcnt lgkmcnt(0)
	s_barrier
	global_load_dwordx4 v[16:19], v20, s[14:15]
	global_load_dwordx4 v[12:15], v20, s[14:15] offset:16
	global_load_dwordx4 v[4:7], v20, s[14:15] offset:48
	;; [unrolled: 1-line block ×4, first 2 shown]
	v_add_lshl_u32 v139, v106, v61, 3
	v_add_u32_e32 v63, 0x800, v139
	v_add_u32_e32 v32, 0xc00, v139
	ds_read2_b64 v[20:23], v139 offset1:78
	ds_read2_b64 v[24:27], v139 offset0:156 offset1:234
	v_add_u32_e32 v56, 0x1000, v139
	ds_read_b64 v[36:37], v139 offset:6240
	ds_read2_b64 v[28:31], v63 offset0:56 offset1:134
	ds_read2_b64 v[40:43], v32 offset0:84 offset1:162
	;; [unrolled: 1-line block ×3, first 2 shown]
	s_mov_b32 s0, 0x3f575c64
	s_mov_b32 s4, 0xbe11bafb
	;; [unrolled: 1-line block ×18, first 2 shown]
	s_waitcnt lgkmcnt(0)
	s_barrier
	s_mov_b32 s34, 0x3f68dda4
	s_mov_b32 s35, s36
	;; [unrolled: 1-line block ×8, first 2 shown]
	s_waitcnt vmcnt(4)
	v_pk_mul_f32 v[44:45], v[22:23], v[16:17] op_sel:[0,1]
	v_mov_b32_e32 v46, v19
	s_waitcnt vmcnt(3)
	v_mov_b32_e32 v50, v15
	s_waitcnt vmcnt(1)
	v_mov_b32_e32 v66, v3
	v_pk_mul_f32 v[48:49], v[26:27], v[12:13] op_sel:[0,1]
	v_pk_mul_f32 v[52:53], v[42:43], v[4:5] op_sel:[0,1]
	v_mov_b32_e32 v54, v7
	v_pk_mul_f32 v[58:59], v[34:35], v[0:1] op_sel:[0,1]
	s_waitcnt vmcnt(0)
	v_pk_mul_f32 v[68:69], v[30:31], v[8:9] op_sel:[0,1]
	v_pk_fma_f32 v[72:73], v[22:23], v[16:17], v[44:45] op_sel:[0,0,1] op_sel_hi:[1,1,0] neg_lo:[0,0,1] neg_hi:[0,0,1]
	v_pk_fma_f32 v[22:23], v[22:23], v[16:17], v[44:45] op_sel:[0,0,1] op_sel_hi:[1,0,0]
	v_pk_mul_f32 v[44:45], v[24:25], v[46:47] op_sel_hi:[1,0]
	v_pk_mul_f32 v[46:47], v[28:29], v[50:51] op_sel_hi:[1,0]
	;; [unrolled: 1-line block ×3, first 2 shown]
	v_pk_fma_f32 v[74:75], v[26:27], v[12:13], v[48:49] op_sel:[0,0,1] op_sel_hi:[1,1,0] neg_lo:[0,0,1] neg_hi:[0,0,1]
	v_pk_fma_f32 v[26:27], v[26:27], v[12:13], v[48:49] op_sel:[0,0,1] op_sel_hi:[1,0,0]
	v_pk_fma_f32 v[76:77], v[42:43], v[4:5], v[52:53] op_sel:[0,0,1] op_sel_hi:[1,1,0] neg_lo:[0,0,1] neg_hi:[0,0,1]
	v_pk_fma_f32 v[42:43], v[42:43], v[4:5], v[52:53] op_sel:[0,0,1] op_sel_hi:[1,0,0]
	v_pk_mul_f32 v[48:49], v[32:33], v[54:55] op_sel_hi:[1,0]
	v_pk_fma_f32 v[52:53], v[34:35], v[0:1], v[58:59] op_sel:[0,0,1] op_sel_hi:[1,1,0] neg_lo:[0,0,1] neg_hi:[0,0,1]
	v_pk_fma_f32 v[34:35], v[34:35], v[0:1], v[58:59] op_sel:[0,0,1] op_sel_hi:[1,0,0]
	v_pk_fma_f32 v[54:55], v[30:31], v[8:9], v[68:69] op_sel:[0,0,1] op_sel_hi:[1,1,0] neg_lo:[0,0,1] neg_hi:[0,0,1]
	v_pk_fma_f32 v[58:59], v[30:31], v[8:9], v[68:69] op_sel:[0,0,1] op_sel_hi:[1,0,0]
	v_mov_b32_e32 v73, v23
	v_pk_fma_f32 v[66:67], v[24:25], v[18:19], v[44:45] op_sel:[0,0,1] op_sel_hi:[1,1,0] neg_lo:[0,0,1] neg_hi:[0,0,1]
	v_pk_fma_f32 v[22:23], v[24:25], v[18:19], v[44:45] op_sel:[0,0,1] op_sel_hi:[1,0,0]
	v_pk_fma_f32 v[68:69], v[28:29], v[14:15], v[46:47] op_sel:[0,0,1] op_sel_hi:[1,1,0] neg_lo:[0,0,1] neg_hi:[0,0,1]
	v_pk_fma_f32 v[24:25], v[28:29], v[14:15], v[46:47] op_sel:[0,0,1] op_sel_hi:[1,0,0]
	;; [unrolled: 2-line block ×3, first 2 shown]
	v_mov_b32_e32 v75, v27
	v_pk_fma_f32 v[78:79], v[32:33], v[6:7], v[48:49] op_sel:[0,0,1] op_sel_hi:[1,1,0] neg_lo:[0,0,1] neg_hi:[0,0,1]
	v_pk_fma_f32 v[26:27], v[32:33], v[6:7], v[48:49] op_sel:[0,0,1] op_sel_hi:[1,0,0]
	v_mov_b32_e32 v81, v29
	v_mov_b32_e32 v53, v35
	;; [unrolled: 1-line block ×4, first 2 shown]
	v_pk_add_f32 v[32:33], v[72:73], v[80:81]
	v_pk_add_f32 v[34:35], v[72:73], v[80:81] neg_lo:[0,1] neg_hi:[0,1]
	v_mov_b32_e32 v69, v25
	v_pk_add_f32 v[28:29], v[66:67], v[52:53] neg_lo:[0,1] neg_hi:[0,1]
	v_pk_add_f32 v[24:25], v[74:75], v[78:79] neg_lo:[0,1] neg_hi:[0,1]
	v_mov_b32_e32 v50, v32
	v_mov_b32_e32 v51, v35
	;; [unrolled: 1-line block ×3, first 2 shown]
	v_pk_add_f32 v[26:27], v[66:67], v[52:53]
	v_pk_add_f32 v[22:23], v[74:75], v[78:79]
	v_mov_b32_e32 v44, v25
	v_mov_b32_e32 v45, v29
	v_pk_mul_f32 v[30:31], v[50:51], s[0:1]
	v_mov_b32_e32 v77, v43
	v_mov_b32_e32 v42, v22
	;; [unrolled: 1-line block ×3, first 2 shown]
	v_pk_mul_f32 v[48:49], v[44:45], s[20:21]
	v_mov_b32_e32 v58, v31
	v_pk_mul_f32 v[36:37], v[40:41], v[70:71] op_sel_hi:[1,0]
	v_mov_b32_e32 v82, v33
	v_mov_b32_e32 v83, v34
	v_pk_fma_f32 v[30:31], v[50:51], s[0:1], v[58:59] neg_lo:[0,0,1] neg_hi:[0,0,1]
	v_pk_fma_f32 v[70:71], v[40:41], v[10:11], v[36:37] op_sel:[0,0,1] op_sel_hi:[1,1,0] neg_lo:[0,0,1] neg_hi:[0,0,1]
	v_pk_fma_f32 v[86:87], v[40:41], v[10:11], v[36:37] op_sel:[0,0,1] op_sel_hi:[1,0,0]
	v_pk_fma_f32 v[36:37], v[42:43], s[18:19], v[48:49] neg_lo:[0,0,1] neg_hi:[0,0,1]
	v_pk_mul_f32 v[84:85], v[82:83], s[0:1]
	v_pk_add_f32 v[30:31], v[20:21], v[30:31]
	v_mov_b32_e32 v40, v37
	v_mov_b32_e32 v90, v23
	;; [unrolled: 1-line block ×3, first 2 shown]
	v_pk_add_f32 v[30:31], v[40:41], v[30:31]
	v_mov_b32_e32 v40, v85
	v_mov_b32_e32 v92, v24
	;; [unrolled: 1-line block ×3, first 2 shown]
	v_pk_mul_f32 v[94:95], v[90:91], s[18:19]
	v_pk_fma_f32 v[40:41], v[82:83], s[0:1], v[40:41]
	v_pk_add_f32 v[88:89], v[36:37], v[30:31]
	v_mov_b32_e32 v86, v21
	v_pk_fma_f32 v[36:37], v[92:93], s[20:21], v[94:95]
	v_pk_add_f32 v[30:31], v[86:87], v[40:41]
	v_mov_b32_e32 v40, v37
	v_pk_add_f32 v[30:31], v[40:41], v[30:31]
	v_pk_add_f32 v[46:47], v[68:69], v[76:77]
	;; [unrolled: 1-line block ×3, first 2 shown]
	v_pk_add_f32 v[36:37], v[68:69], v[76:77] neg_lo:[0,1] neg_hi:[0,1]
	v_mov_b32_e32 v31, v47
	v_mov_b32_e32 v30, v36
	v_pk_add_f32 v[72:73], v[20:21], v[72:73]
	v_pk_mul_f32 v[40:41], v[30:31], s[26:27]
	v_pk_add_f32 v[66:67], v[72:73], v[66:67]
	v_mov_b32_e32 v55, v40
	v_pk_add_f32 v[66:67], v[66:67], v[74:75]
	v_pk_fma_f32 v[40:41], v[30:31], s[26:27], v[54:55]
	v_pk_fma_f32 v[30:31], v[30:31], s[26:27], v[54:55] neg_lo:[0,0,1] neg_hi:[0,0,1]
	v_mov_b32_e32 v55, v59
	v_pk_add_f32 v[66:67], v[66:67], v[68:69]
	v_mov_b32_e32 v71, v87
	v_pk_add_f32 v[66:67], v[66:67], v[54:55]
	v_pk_add_f32 v[68:69], v[54:55], v[70:71]
	;; [unrolled: 1-line block ×3, first 2 shown]
	v_pk_add_f32 v[54:55], v[54:55], v[70:71] neg_lo:[0,1] neg_hi:[0,1]
	v_pk_add_f32 v[66:67], v[66:67], v[76:77]
	s_mov_b32 s27, s29
	v_pk_add_f32 v[66:67], v[66:67], v[78:79]
	v_mov_b32_e32 v57, v96
	v_pk_add_f32 v[52:53], v[66:67], v[52:53]
	v_mov_b32_e32 v66, v69
	v_mov_b32_e32 v67, v47
	v_pk_mul_f32 v[70:71], v[66:67], s[30:31]
	v_pk_add_f32 v[52:53], v[52:53], v[80:81]
	v_mov_b32_e32 v89, v70
	v_mov_b32_e32 v70, v46
	;; [unrolled: 1-line block ×3, first 2 shown]
	v_pk_mul_f32 v[72:73], v[70:71], s[28:29]
	v_pk_mul_f32 v[80:81], v[24:25], s[36:37] op_sel:[1,0] op_sel_hi:[0,0]
	v_mov_b32_e32 v30, v73
	v_mov_b32_e32 v72, v54
	;; [unrolled: 1-line block ×3, first 2 shown]
	v_pk_fma_f32 v[74:75], v[70:71], s[28:29], v[30:31] neg_lo:[0,0,1] neg_hi:[0,0,1]
	v_pk_mul_f32 v[76:77], v[72:73], s[26:27]
	v_mov_b32_e32 v96, v68
	v_mov_b32_e32 v75, v76
	v_pk_add_f32 v[74:75], v[74:75], v[88:89]
	v_pk_fma_f32 v[88:89], v[22:23], s[24:25], v[80:81] op_sel_hi:[1,0,1]
	v_pk_fma_f32 v[80:81], v[22:23], s[24:25], v[80:81] op_sel_hi:[1,0,1] neg_lo:[0,0,1] neg_hi:[0,0,1]
	v_mov_b32_e32 v97, v55
	s_mov_b32 s25, s26
	v_pk_mul_f32 v[98:99], v[96:97], s[24:25]
	v_pk_fma_f32 v[78:79], v[66:67], s[30:31], v[76:77]
	v_mov_b32_e32 v40, v99
	v_pk_add_f32 v[78:79], v[78:79], v[56:57]
	v_pk_fma_f32 v[98:99], v[96:97], s[24:25], v[40:41] neg_lo:[0,0,1] neg_hi:[0,0,1]
	v_mul_u32_u24_e32 v57, 0x8f, v100
	v_mov_b32_e32 v99, v79
	v_add_u32_sdwa v57, v57, v101 dst_sel:DWORD dst_unused:UNUSED_PAD src0_sel:DWORD src1_sel:BYTE_0
	v_pk_add_f32 v[74:75], v[98:99], v[74:75]
	v_add_lshl_u32 v141, v106, v57, 3
	ds_write2_b64 v141, v[52:53], v[74:75] offset1:13
	v_pk_mul_f32 v[52:53], v[82:83], s[4:5]
	v_pk_mul_f32 v[78:79], v[34:35], s[22:23] op_sel:[1,0] op_sel_hi:[0,0]
	v_mov_b32_e32 v74, v53
	v_pk_fma_f32 v[74:75], v[82:83], s[4:5], v[74:75]
	v_pk_mul_f32 v[98:99], v[50:51], s[4:5]
	v_pk_add_f32 v[74:75], v[86:87], v[74:75]
	v_pk_fma_f32 v[86:87], v[32:33], s[2:3], v[78:79] op_sel_hi:[1,0,1]
	v_pk_fma_f32 v[78:79], v[32:33], s[2:3], v[78:79] op_sel_hi:[1,0,1] neg_lo:[0,0,1] neg_hi:[0,0,1]
	v_mov_b32_e32 v98, v99
	s_mov_b32 s3, s24
	v_pk_mul_f32 v[102:103], v[44:45], s[34:35]
	v_pk_fma_f32 v[100:101], v[50:51], s[4:5], v[98:99] neg_lo:[0,0,1] neg_hi:[0,0,1]
	v_pk_fma_f32 v[104:105], v[42:43], s[2:3], v[102:103] neg_lo:[0,0,1] neg_hi:[0,0,1]
	v_pk_add_f32 v[100:101], v[20:21], v[100:101]
	v_mov_b32_e32 v106, v105
	v_pk_add_f32 v[100:101], v[106:107], v[100:101]
	v_pk_mul_f32 v[90:91], v[90:91], s[2:3]
	v_pk_add_f32 v[100:101], v[104:105], v[100:101]
	v_pk_fma_f32 v[104:105], v[92:93], s[34:35], v[90:91]
	s_mov_b32 s22, s29
	v_mov_b32_e32 v106, v105
	v_pk_add_f32 v[74:75], v[106:107], v[74:75]
	v_mov_b32_e32 v59, v81
	v_pk_add_f32 v[74:75], v[104:105], v[74:75]
	v_pk_mul_f32 v[104:105], v[28:29], s[22:23] op_sel:[1,0] op_sel_hi:[0,0]
	v_pk_fma_f32 v[106:107], v[26:27], s[28:29], v[104:105] op_sel_hi:[1,0,1]
	v_pk_fma_f32 v[104:105], v[26:27], s[28:29], v[104:105] op_sel_hi:[1,0,1] neg_lo:[0,0,1] neg_hi:[0,0,1]
	v_mov_b32_e32 v75, v79
	v_mov_b32_e32 v79, v87
	v_pk_add_f32 v[78:79], v[20:21], v[78:79]
	v_mov_b32_e32 v53, v105
	v_mov_b32_e32 v105, v107
	v_pk_add_f32 v[78:79], v[104:105], v[78:79]
	v_mov_b32_e32 v81, v89
	s_mov_b32 s36, s39
	v_pk_add_f32 v[78:79], v[80:81], v[78:79]
	v_pk_mul_f32 v[80:81], v[36:37], s[36:37] op_sel:[1,0] op_sel_hi:[0,0]
	v_pk_fma_f32 v[104:105], v[46:47], s[4:5], v[80:81] op_sel_hi:[1,0,1]
	v_pk_fma_f32 v[80:81], v[46:47], s[4:5], v[80:81] op_sel_hi:[1,0,1] neg_lo:[0,0,1] neg_hi:[0,0,1]
	s_mov_b32 s36, 0x3f0a6770
	v_mov_b32_e32 v85, v81
	v_mov_b32_e32 v81, v105
	v_pk_add_f32 v[78:79], v[80:81], v[78:79]
	v_pk_mul_f32 v[80:81], v[54:55], s[36:37] op_sel:[1,0] op_sel_hi:[0,0]
	v_pk_fma_f32 v[108:109], v[68:69], s[0:1], v[80:81] op_sel_hi:[1,0,1]
	v_pk_fma_f32 v[80:81], v[68:69], s[0:1], v[80:81] op_sel_hi:[1,0,1] neg_lo:[0,0,1] neg_hi:[0,0,1]
	v_pk_mul_f32 v[72:73], v[72:73], s[42:43]
	v_mov_b32_e32 v87, v81
	v_mov_b32_e32 v81, v109
	v_pk_mul_f32 v[112:113], v[66:67], s[40:41]
	v_pk_add_f32 v[78:79], v[80:81], v[78:79]
	v_mov_b32_e32 v57, v74
	v_pk_fma_f32 v[80:81], v[66:67], s[40:41], v[72:73]
	v_mov_b32_e32 v101, v112
	v_pk_mul_f32 v[112:113], v[70:71], s[0:1]
	v_pk_add_f32 v[80:81], v[80:81], v[56:57]
	v_pk_mul_f32 v[110:111], v[96:97], s[28:29]
	v_mov_b32_e32 v112, v113
	v_mov_b32_e32 v80, v111
	v_pk_fma_f32 v[114:115], v[70:71], s[0:1], v[112:113] neg_lo:[0,0,1] neg_hi:[0,0,1]
	v_pk_fma_f32 v[110:111], v[96:97], s[28:29], v[80:81] neg_lo:[0,0,1] neg_hi:[0,0,1]
	v_mov_b32_e32 v115, v72
	v_mov_b32_e32 v111, v81
	v_pk_add_f32 v[100:101], v[114:115], v[100:101]
	v_mov_b32_e32 v57, v84
	v_pk_add_f32 v[100:101], v[110:111], v[100:101]
	v_pk_mul_f32 v[110:111], v[50:51], s[28:29]
	v_mov_b32_e32 v114, v34
	v_mov_b32_e32 v115, v33
	s_mov_b32 s43, s28
	ds_write2_b64 v141, v[78:79], v[100:101] offset0:26 offset1:39
	v_pk_fma_f32 v[78:79], v[82:83], s[0:1], v[56:57] neg_lo:[1,0,0] neg_hi:[1,0,0]
	v_mov_b32_e32 v57, v52
	v_mov_b32_e32 v52, v111
	v_pk_mul_f32 v[116:117], v[114:115], s[42:43]
	v_mov_b32_e32 v74, v86
	v_pk_fma_f32 v[100:101], v[50:51], s[0:1], v[58:59]
	v_pk_fma_f32 v[98:99], v[50:51], s[4:5], v[98:99]
	v_pk_fma_f32 v[110:111], v[50:51], s[28:29], v[52:53] neg_lo:[0,0,1] neg_hi:[0,0,1]
	v_pk_fma_f32 v[50:51], v[50:51], s[28:29], v[52:53]
	v_mov_b32_e32 v52, v117
	v_pk_fma_f32 v[118:119], v[114:115], s[42:43], v[52:53]
	v_mov_b32_e32 v52, v106
	v_pk_add_f32 v[74:75], v[20:21], v[74:75]
	v_mov_b32_e32 v51, v116
	v_pk_add_f32 v[52:53], v[52:53], v[74:75]
	v_mov_b32_e32 v74, v27
	v_mov_b32_e32 v75, v28
	v_pk_mul_f32 v[106:107], v[74:75], s[38:39]
	v_pk_fma_f32 v[114:115], v[114:115], s[42:43], v[50:51] neg_lo:[0,0,1] neg_hi:[0,0,1]
	v_mov_b32_e32 v51, v106
	v_pk_fma_f32 v[74:75], v[74:75], s[38:39], v[50:51] neg_lo:[1,0,0] neg_hi:[1,0,0]
	s_mov_b32 s38, s1
	v_mov_b32_e32 v58, v88
	v_pk_fma_f32 v[88:89], v[92:93], s[34:35], v[90:91] neg_lo:[1,0,0] neg_hi:[1,0,0]
	v_pk_fma_f32 v[90:91], v[42:43], s[18:19], v[48:49]
	s_mov_b32 s18, s0
	s_mov_b32 s19, s4
	v_pk_mul_f32 v[44:45], v[44:45], s[38:39]
	v_pk_add_f32 v[52:53], v[58:59], v[52:53]
	v_pk_fma_f32 v[58:59], v[92:93], s[20:21], v[94:95] neg_lo:[1,0,0] neg_hi:[1,0,0]
	v_pk_fma_f32 v[92:93], v[42:43], s[2:3], v[102:103]
	v_pk_fma_f32 v[48:49], v[42:43], s[18:19], v[44:45] neg_lo:[0,0,1] neg_hi:[0,0,1]
	v_pk_fma_f32 v[42:43], v[42:43], s[18:19], v[44:45]
	v_mov_b32_e32 v44, v24
	v_mov_b32_e32 v45, v23
	s_mov_b32 s18, s1
	s_mov_b32 s19, s0
	v_pk_mul_f32 v[94:95], v[44:45], s[18:19]
	v_pk_fma_f32 v[76:77], v[66:67], s[30:31], v[76:77] neg_lo:[0,0,1] neg_hi:[0,0,1]
	v_mov_b32_e32 v51, v94
	v_pk_fma_f32 v[94:95], v[44:45], s[18:19], v[50:51]
	v_pk_fma_f32 v[44:45], v[44:45], s[18:19], v[50:51] neg_lo:[0,0,1] neg_hi:[0,0,1]
	s_mov_b32 s18, s5
	v_pk_fma_f32 v[66:67], v[66:67], s[40:41], v[72:73] neg_lo:[0,0,1] neg_hi:[0,0,1]
	v_pk_mul_f32 v[72:73], v[36:37], s[34:35] op_sel:[1,0] op_sel_hi:[0,0]
	v_mov_b32_e32 v105, v54
	v_mov_b32_e32 v36, v55
	v_pk_mul_f32 v[54:55], v[54:55], s[18:19] op_sel:[1,0] op_sel_hi:[0,0]
	v_mov_b32_e32 v111, v106
	v_mov_b32_e32 v106, v20
	;; [unrolled: 1-line block ×5, first 2 shown]
	v_pk_fma_f32 v[102:103], v[96:97], s[24:25], v[40:41]
	v_pk_fma_f32 v[80:81], v[96:97], s[28:29], v[80:81]
	v_pk_fma_f32 v[96:97], v[46:47], s[2:3], v[72:73] op_sel_hi:[1,0,1]
	v_pk_fma_f32 v[72:73], v[46:47], s[2:3], v[72:73] op_sel_hi:[1,0,1] neg_lo:[0,0,1] neg_hi:[0,0,1]
	v_mov_b32_e32 v104, v69
	v_mov_b32_e32 v47, v46
	;; [unrolled: 1-line block ×3, first 2 shown]
	v_pk_fma_f32 v[108:109], v[68:69], s[4:5], v[54:55] op_sel_hi:[1,0,1]
	v_pk_fma_f32 v[68:69], v[68:69], s[4:5], v[54:55] op_sel_hi:[1,0,1] neg_lo:[0,0,1] neg_hi:[0,0,1]
	v_pk_add_f32 v[54:55], v[106:107], v[110:111]
	v_pk_add_f32 v[106:107], v[20:21], v[50:51]
	s_mov_b32 s35, s26
	v_mov_b32_e32 v106, v49
	v_pk_add_f32 v[54:55], v[106:107], v[54:55]
	v_mov_b32_e32 v49, v95
	v_pk_mul_f32 v[36:37], v[36:37], s[34:35]
	v_pk_add_f32 v[48:49], v[48:49], v[54:55]
	v_pk_fma_f32 v[54:55], v[46:47], s[2:3], v[36:37] neg_lo:[0,0,1] neg_hi:[0,0,1]
	v_pk_fma_f32 v[82:83], v[82:83], s[4:5], v[56:57] neg_lo:[1,0,0] neg_hi:[1,0,0]
	v_mov_b32_e32 v40, v55
	s_mov_b32 s4, s2
	s_mov_b32 s5, s34
	v_pk_add_f32 v[40:41], v[40:41], v[48:49]
	v_pk_mul_f32 v[48:49], v[104:105], s[4:5]
	v_pk_fma_f32 v[46:47], v[46:47], s[2:3], v[36:37]
	v_mov_b32_e32 v37, v48
	v_pk_fma_f32 v[36:37], v[104:105], s[4:5], v[36:37]
	v_pk_mul_f32 v[34:35], v[34:35], s[26:27] op_sel:[1,0] op_sel_hi:[0,0]
	v_mov_b32_e32 v55, v37
	v_pk_add_f32 v[36:37], v[54:55], v[40:41]
	v_pk_fma_f32 v[40:41], v[32:33], s[24:25], v[34:35] op_sel_hi:[1,0,1] neg_lo:[0,0,1] neg_hi:[0,0,1]
	v_pk_fma_f32 v[32:33], v[32:33], s[24:25], v[34:35] op_sel_hi:[1,0,1]
	v_pk_mul_f32 v[28:29], v[28:29], s[36:37] op_sel:[1,0] op_sel_hi:[0,0]
	v_mov_b32_e32 v34, v40
	v_mov_b32_e32 v35, v33
	;; [unrolled: 1-line block ×3, first 2 shown]
	v_pk_fma_f32 v[40:41], v[26:27], s[0:1], v[28:29] op_sel_hi:[1,0,1] neg_lo:[0,0,1] neg_hi:[0,0,1]
	v_pk_fma_f32 v[26:27], v[26:27], s[0:1], v[28:29] op_sel_hi:[1,0,1]
	v_pk_add_f32 v[28:29], v[20:21], v[34:35]
	v_mov_b32_e32 v34, v40
	v_mov_b32_e32 v35, v27
	v_pk_mul_f32 v[24:25], v[24:25], s[22:23] op_sel:[1,0] op_sel_hi:[0,0]
	v_pk_add_f32 v[28:29], v[34:35], v[28:29]
	v_pk_fma_f32 v[34:35], v[22:23], s[28:29], v[24:25] op_sel_hi:[1,0,1] neg_lo:[0,0,1] neg_hi:[0,0,1]
	v_pk_fma_f32 v[22:23], v[22:23], s[28:29], v[24:25] op_sel_hi:[1,0,1]
	v_mov_b32_e32 v24, v34
	v_mov_b32_e32 v25, v23
	v_pk_add_f32 v[24:25], v[24:25], v[28:29]
	v_mov_b32_e32 v27, v41
	v_pk_add_f32 v[28:29], v[20:21], v[32:33]
	;; [unrolled: 2-line block ×4, first 2 shown]
	v_mov_b32_e32 v26, v96
	v_mov_b32_e32 v27, v73
	v_pk_add_f32 v[22:23], v[26:27], v[22:23]
	v_mov_b32_e32 v26, v108
	v_mov_b32_e32 v27, v69
	;; [unrolled: 1-line block ×3, first 2 shown]
	v_pk_fma_f32 v[94:95], v[104:105], s[4:5], v[48:49] neg_lo:[1,0,0] neg_hi:[1,0,0]
	v_pk_add_f32 v[48:49], v[26:27], v[22:23]
	v_pk_add_f32 v[22:23], v[20:21], v[50:51]
	v_mov_b32_e32 v74, v43
	v_mov_b32_e32 v73, v97
	v_pk_add_f32 v[22:23], v[74:75], v[22:23]
	v_mov_b32_e32 v43, v45
	v_pk_add_f32 v[52:53], v[84:85], v[52:53]
	v_pk_fma_f32 v[84:85], v[70:71], s[28:29], v[30:31]
	v_pk_add_f32 v[24:25], v[72:73], v[24:25]
	v_mov_b32_e32 v69, v109
	v_pk_add_f32 v[22:23], v[42:43], v[22:23]
	v_mov_b32_e32 v30, v47
	v_pk_add_f32 v[24:25], v[68:69], v[24:25]
	v_pk_add_f32 v[22:23], v[30:31], v[22:23]
	v_mov_b32_e32 v47, v95
	v_mov_b32_e32 v99, v83
	ds_write2_b64 v141, v[36:37], v[24:25] offset0:52 offset1:65
	v_pk_add_f32 v[50:51], v[46:47], v[22:23]
	v_pk_add_f32 v[22:23], v[20:21], v[98:99]
	v_mov_b32_e32 v24, v93
	v_mov_b32_e32 v25, v89
	v_pk_fma_f32 v[70:71], v[70:71], s[0:1], v[112:113]
	v_pk_add_f32 v[22:23], v[24:25], v[22:23]
	v_mov_b32_e32 v93, v88
	v_pk_add_f32 v[22:23], v[92:93], v[22:23]
	v_mov_b32_e32 v71, v67
	;; [unrolled: 2-line block ×3, first 2 shown]
	v_mov_b32_e32 v101, v79
	v_pk_add_f32 v[54:55], v[86:87], v[52:53]
	v_pk_add_f32 v[52:53], v[80:81], v[22:23]
	;; [unrolled: 1-line block ×3, first 2 shown]
	v_mov_b32_e32 v22, v91
	v_mov_b32_e32 v23, v59
	v_pk_add_f32 v[20:21], v[22:23], v[20:21]
	v_mov_b32_e32 v91, v58
	v_pk_add_f32 v[20:21], v[90:91], v[20:21]
	;; [unrolled: 2-line block ×4, first 2 shown]
	ds_write2_b64 v141, v[48:49], v[50:51] offset0:78 offset1:91
	ds_write2_b64 v141, v[52:53], v[54:55] offset0:104 offset1:117
	ds_write_b64 v141, v[36:37] offset:1040
	s_waitcnt lgkmcnt(0)
	s_barrier
	ds_read2_b64 v[40:43], v139 offset1:143
	ds_read2_b64 v[44:47], v63 offset0:30 offset1:173
	ds_read2_b64 v[56:59], v56 offset0:60 offset1:203
	s_movk_i32 s0, 0x41
	v_cmp_lt_u16_e64 s[4:5], 64, v61
	v_cmp_gt_u16_e64 s[2:3], s0, v61
	s_and_saveexec_b64 s[0:1], s[2:3]
	s_cbranch_execz .LBB0_9
; %bb.8:
	v_add_u32_e32 v20, 0x1400, v139
	ds_read2_b64 v[48:51], v139 offset0:78 offset1:221
	ds_read2_b64 v[52:55], v63 offset0:108 offset1:251
	;; [unrolled: 1-line block ×3, first 2 shown]
.LBB0_9:
	s_or_b64 exec, exec, s[0:1]
	v_mad_u64_u32 v[28:29], s[0:1], v61, 40, s[14:15]
	global_load_dwordx4 v[24:27], v[28:29], off offset:1040
	global_load_dwordx4 v[20:23], v[28:29], off offset:1056
	global_load_dwordx2 v[66:67], v[28:29], off offset:1072
	v_add_u32_e32 v28, 0x4e, v61
	v_add_u32_e32 v29, 0xffffffbf, v61
	v_cndmask_b32_e64 v28, v29, v28, s[2:3]
	v_mul_hi_i32_i24_e32 v29, 40, v28
	v_mul_i32_i24_e32 v28, 40, v28
	v_lshl_add_u64 v[82:83], s[14:15], 0, v[28:29]
	global_load_dwordx2 v[68:69], v[82:83], off offset:1072
	global_load_dwordx4 v[28:31], v[82:83], off offset:1056
	global_load_dwordx4 v[32:35], v[82:83], off offset:1040
	s_waitcnt lgkmcnt(2)
	v_mov_b32_e32 v70, v51
	v_mov_b32_e32 v72, v51
	;; [unrolled: 1-line block ×4, first 2 shown]
	s_waitcnt lgkmcnt(1)
	v_mov_b32_e32 v74, v47
	v_mov_b32_e32 v51, 0x3f5db3d7
	v_mov_b32_e32 v76, 0.5
	v_mov_b32_e32 v81, v76
	s_mov_b32 s0, 0x3f5db3d7
	s_mov_b32 s1, 0.5
	v_mov_b32_e32 v79, v41
	v_mov_b32_e32 v78, v76
	s_mov_b32 s18, s1
	s_mov_b32 s19, s0
	s_mov_b32 s14, 0xbf5db3d7
	s_mov_b32 s15, s0
	v_lshl_add_u32 v140, v61, 3, v138
	s_waitcnt vmcnt(5)
	v_pk_mul_f32 v[82:83], v[42:43], v[24:25]
	s_waitcnt vmcnt(4)
	v_pk_mul_f32 v[90:91], v[46:47], v[20:21]
	v_mov_b32_e32 v82, v25
	v_mov_b32_e32 v90, v21
	;; [unrolled: 1-line block ×3, first 2 shown]
	s_waitcnt vmcnt(3) lgkmcnt(0)
	v_pk_mul_f32 v[94:95], v[58:59], v[66:67] op_sel:[0,1]
	v_mov_b32_e32 v96, v83
	v_pk_mul_f32 v[82:83], v[42:43], v[82:83]
	v_mov_b32_e32 v98, v91
	v_pk_mul_f32 v[90:91], v[46:47], v[90:91]
	v_pk_mul_f32 v[92:93], v[56:57], v[92:93] op_sel_hi:[1,0]
	v_pk_fma_f32 v[100:101], v[58:59], v[66:67], v[94:95] op_sel:[0,0,1] op_sel_hi:[1,0,0] neg_lo:[0,0,1] neg_hi:[0,0,1]
	v_pk_fma_f32 v[58:59], v[58:59], v[66:67], v[94:95] op_sel:[0,0,1] op_sel_hi:[1,0,0]
	v_pk_fma_f32 v[42:43], v[42:43], v[24:25], v[96:97] neg_lo:[0,0,1] neg_hi:[0,0,1]
	v_pk_fma_f32 v[82:83], v[50:51], v[24:25], v[82:83]
	v_pk_fma_f32 v[46:47], v[46:47], v[20:21], v[98:99] neg_lo:[0,0,1] neg_hi:[0,0,1]
	v_pk_fma_f32 v[74:75], v[74:75], v[20:21], v[90:91]
	v_mul_f32_e32 v84, v44, v26
	v_mul_f32_e32 v86, v45, v27
	;; [unrolled: 1-line block ×3, first 2 shown]
	v_pk_fma_f32 v[90:91], v[56:57], v[22:23], v[92:93] op_sel:[0,0,1] op_sel_hi:[1,0,0] neg_lo:[0,0,1] neg_hi:[0,0,1]
	v_add_f32_e32 v50, v46, v100
	v_mov_b32_e32 v43, v82
	v_mov_b32_e32 v77, v42
	;; [unrolled: 1-line block ×7, first 2 shown]
	v_sub_f32_e32 v63, v46, v100
	v_fmac_f32_e32 v77, -0.5, v50
	v_pk_add_f32 v[42:43], v[42:43], v[46:47]
	v_pk_add_f32 v[46:47], v[44:45], v[58:59]
	v_pk_add_f32 v[58:59], v[84:85], v[86:87] neg_lo:[0,1] neg_hi:[0,1]
	v_mov_b32_e32 v50, v90
	v_mov_b32_e32 v80, v27
	;; [unrolled: 1-line block ×3, first 2 shown]
	v_pk_add_f32 v[82:83], v[42:43], v[100:101]
	v_pk_add_f32 v[42:43], v[58:59], v[90:91]
	v_pk_mul_f32 v[84:85], v[58:59], v[50:51]
	v_mov_b32_e32 v45, v47
	v_pk_fma_f32 v[56:57], v[56:57], v[22:23], v[92:93] op_sel:[0,0,1] op_sel_hi:[1,0,0]
	v_mov_b32_e32 v46, v58
	v_pk_add_f32 v[58:59], v[58:59], v[90:91] neg_lo:[0,1] neg_hi:[0,1]
	v_mov_b32_e32 v43, v85
	v_pk_fma_f32 v[86:87], v[44:45], v[80:81], v[88:89]
	v_pk_fma_f32 v[44:45], v[44:45], v[80:81], v[88:89] neg_lo:[1,0,0] neg_hi:[1,0,0]
	v_mov_b32_e32 v74, v57
	v_mul_f32_e32 v75, 0x3f5db3d7, v63
	v_mov_b32_e32 v50, v40
	v_pk_add_f32 v[80:81], v[42:43], v[76:77]
	v_mov_b32_e32 v87, v45
	v_mov_b32_e32 v47, v86
	v_add_f32_e32 v59, v86, v57
	v_mov_b32_e32 v56, v90
	v_pk_add_f32 v[86:87], v[86:87], v[74:75] neg_lo:[0,1] neg_hi:[0,1]
	v_pk_mul_f32 v[50:51], v[50:51], v[80:81]
	v_pk_add_f32 v[46:47], v[40:41], v[46:47]
	v_mul_f32_e32 v89, 0.5, v59
	v_mov_b32_e32 v88, v81
	v_pk_fma_f32 v[42:43], v[42:43], v[76:77], v[40:41] neg_lo:[1,0,0] neg_hi:[1,0,0]
	v_pk_add_f32 v[46:47], v[46:47], v[56:57]
	v_pk_mul_f32 v[56:57], v[78:79], v[88:89]
	v_pk_add_f32 v[40:41], v[40:41], v[88:89] neg_lo:[0,1] neg_hi:[0,1]
	v_mov_b32_e32 v78, v87
	v_mov_b32_e32 v79, v58
	v_pk_fma_f32 v[50:51], v[86:87], s[0:1], v[50:51] neg_lo:[0,0,1] neg_hi:[0,0,1]
	v_mov_b32_e32 v57, v41
	v_pk_fma_f32 v[58:59], v[78:79], s[0:1], v[40:41] op_sel_hi:[1,0,1] neg_lo:[1,0,0] neg_hi:[1,0,0]
	v_pk_add_f32 v[40:41], v[46:47], v[82:83]
	v_mov_b32_e32 v50, v77
	v_mov_b32_e32 v74, v77
	;; [unrolled: 1-line block ×4, first 2 shown]
	v_pk_add_f32 v[46:47], v[46:47], v[82:83] neg_lo:[0,1] neg_hi:[0,1]
	s_waitcnt vmcnt(1)
	v_pk_mul_f32 v[82:83], v[54:55], v[28:29] op_sel:[1,0]
	v_pk_add_f32 v[76:77], v[50:51], v[76:77] neg_lo:[0,1] neg_hi:[0,1]
	s_waitcnt vmcnt(0)
	v_mov_b32_e32 v50, v35
	v_pk_fma_f32 v[84:85], v[54:55], v[28:29], v[82:83] op_sel:[0,0,1] op_sel_hi:[1,1,0] neg_lo:[0,0,1] neg_hi:[0,0,1]
	v_pk_fma_f32 v[54:55], v[54:55], v[28:29], v[82:83] op_sel:[0,0,1] op_sel_hi:[0,1,0]
	v_pk_add_f32 v[44:45], v[74:75], v[44:45]
	v_pk_mul_f32 v[74:75], v[52:53], v[50:51] op_sel_hi:[1,0]
	v_mov_b32_e32 v85, v55
	v_pk_mul_f32 v[54:55], v[72:73], v[32:33] op_sel:[0,1]
	v_mov_b32_e32 v50, v31
	v_pk_fma_f32 v[70:71], v[70:71], v[32:33], v[54:55] op_sel:[0,0,1] op_sel_hi:[1,1,0]
	v_pk_fma_f32 v[54:55], v[72:73], v[32:33], v[54:55] op_sel:[0,0,1] op_sel_hi:[1,0,0] neg_lo:[0,0,1] neg_hi:[0,0,1]
	v_pk_fma_f32 v[72:73], v[52:53], v[34:35], v[74:75] op_sel:[0,0,1] op_sel_hi:[1,0,0] neg_lo:[0,0,1] neg_hi:[0,0,1]
	v_pk_fma_f32 v[52:53], v[52:53], v[34:35], v[74:75] op_sel:[0,0,1] op_sel_hi:[1,0,0]
	v_pk_fma_f32 v[56:57], v[78:79], s[0:1], v[56:57] op_sel_hi:[1,0,1]
	v_mov_b32_e32 v73, v53
	v_pk_mul_f32 v[52:53], v[36:37], v[50:51] op_sel_hi:[1,0]
	v_pk_fma_f32 v[78:79], v[86:87], s[0:1], v[42:43]
	v_pk_fma_f32 v[74:75], v[36:37], v[30:31], v[52:53] op_sel:[0,0,1] op_sel_hi:[1,1,0] neg_lo:[0,0,1] neg_hi:[0,0,1]
	v_pk_fma_f32 v[36:37], v[36:37], v[30:31], v[52:53] op_sel:[0,0,1] op_sel_hi:[1,0,0]
	v_pk_fma_f32 v[80:81], v[86:87], s[0:1], v[42:43] neg_lo:[1,0,0] neg_hi:[1,0,0]
	v_mov_b32_e32 v58, v56
	v_mov_b32_e32 v79, v51
	;; [unrolled: 1-line block ×3, first 2 shown]
	v_pk_mul_f32 v[36:37], v[38:39], v[68:69] op_sel:[0,1]
	v_pk_add_f32 v[42:43], v[78:79], v[58:59]
	v_pk_fma_f32 v[52:53], v[38:39], v[68:69], v[36:37] op_sel:[0,0,1] op_sel_hi:[1,0,0] neg_lo:[0,0,1] neg_hi:[0,0,1]
	v_pk_fma_f32 v[36:37], v[38:39], v[68:69], v[36:37] op_sel:[0,0,1] op_sel_hi:[1,0,0]
	v_mov_b32_e32 v81, v57
	v_mov_b32_e32 v79, v59
	;; [unrolled: 1-line block ×3, first 2 shown]
	v_pk_add_f32 v[50:51], v[48:49], v[72:73]
	v_mov_b32_e32 v53, v37
	v_pk_add_f32 v[36:37], v[78:79], v[56:57] neg_lo:[0,1] neg_hi:[0,1]
	v_pk_add_f32 v[56:57], v[50:51], v[74:75]
	v_pk_add_f32 v[50:51], v[72:73], v[74:75]
	v_mov_b32_e32 v71, v55
	v_pk_fma_f32 v[48:49], v[50:51], 0.5, v[48:49] op_sel_hi:[1,0,1] neg_lo:[1,0,0] neg_hi:[1,0,0]
	v_pk_add_f32 v[50:51], v[72:73], v[74:75] neg_lo:[0,1] neg_hi:[0,1]
	v_mov_b32_e32 v54, v55
	v_pk_mul_f32 v[50:51], v[50:51], s[0:1] op_sel_hi:[1,0]
	v_mov_b32_e32 v55, v70
	v_pk_add_f32 v[58:59], v[48:49], v[50:51] op_sel:[0,1] op_sel_hi:[1,0]
	v_pk_add_f32 v[72:73], v[48:49], v[50:51] op_sel:[0,1] op_sel_hi:[1,0] neg_lo:[0,1] neg_hi:[0,1]
	v_pk_add_f32 v[48:49], v[84:85], v[52:53]
	v_pk_add_f32 v[50:51], v[84:85], v[52:53] neg_lo:[0,1] neg_hi:[0,1]
	v_pk_mul_f32 v[48:49], v[48:49], 0.5 op_sel_hi:[1,0]
	v_mov_b32_e32 v74, v58
	v_pk_add_f32 v[48:49], v[70:71], v[48:49] op_sel:[0,1] op_sel_hi:[1,0] neg_lo:[0,1] neg_hi:[0,1]
	v_mov_b32_e32 v75, v73
	v_mov_b32_e32 v73, v59
	v_pk_fma_f32 v[58:59], v[50:51], s[0:1], v[48:49] op_sel_hi:[1,0,1]
	v_pk_add_f32 v[54:55], v[54:55], v[84:85]
	v_mov_b32_e32 v77, v45
	v_pk_add_f32 v[54:55], v[54:55], v[52:53]
	v_pk_fma_f32 v[48:49], v[50:51], s[0:1], v[48:49] op_sel_hi:[1,0,1] neg_lo:[1,0,0] neg_hi:[1,0,0]
	v_pk_mul_f32 v[52:53], v[58:59], s[18:19] op_sel:[1,0]
	v_pk_mul_f32 v[44:45], v[76:77], s[14:15]
	v_mov_b32_e32 v50, v58
	v_mov_b32_e32 v51, v49
	v_pk_fma_f32 v[58:59], v[48:49], s[0:1], v[52:53]
	v_pk_fma_f32 v[48:49], v[48:49], s[0:1], v[52:53] op_sel_hi:[0,1,1] neg_lo:[0,0,1] neg_hi:[0,0,1]
	v_pk_fma_f32 v[38:39], v[76:77], 0.5, v[44:45] op_sel:[0,0,1] op_sel_hi:[1,0,0] neg_lo:[1,0,0] neg_hi:[1,0,0]
	v_mov_b32_e32 v59, v49
	s_mov_b32 s1, s14
	v_pk_mul_f32 v[48:49], v[50:51], 0.5 op_sel_hi:[1,0]
	v_pk_add_f32 v[44:45], v[80:81], v[38:39]
	v_pk_fma_f32 v[70:71], v[50:51], s[0:1], v[48:49] op_sel:[0,0,1] op_sel_hi:[1,1,0] neg_lo:[0,0,1] neg_hi:[0,0,1]
	v_add_u32_e32 v63, 0x800, v140
	v_pk_add_f32 v[38:39], v[80:81], v[38:39] neg_lo:[0,1] neg_hi:[0,1]
	v_pk_add_f32 v[48:49], v[56:57], v[54:55]
	v_pk_add_f32 v[50:51], v[74:75], v[58:59]
	;; [unrolled: 1-line block ×3, first 2 shown]
	v_pk_add_f32 v[54:55], v[56:57], v[54:55] neg_lo:[0,1] neg_hi:[0,1]
	v_pk_add_f32 v[56:57], v[74:75], v[58:59] neg_lo:[0,1] neg_hi:[0,1]
	;; [unrolled: 1-line block ×3, first 2 shown]
	ds_write2_b64 v63, v[44:45], v[46:47] offset0:30 offset1:173
	v_add_u32_e32 v63, 0x1000, v140
	ds_write2_b64 v140, v[40:41], v[42:43] offset1:143
	ds_write2_b64 v63, v[36:37], v[38:39] offset0:60 offset1:203
	s_and_saveexec_b64 s[0:1], s[2:3]
	s_cbranch_execz .LBB0_11
; %bb.10:
	v_add_u32_e32 v63, 0x800, v140
	ds_write2_b64 v63, v[52:53], v[54:55] offset0:108 offset1:251
	v_add_u32_e32 v63, 0x1400, v140
	ds_write2_b64 v140, v[48:49], v[50:51] offset0:78 offset1:221
	ds_write2_b64 v63, v[56:57], v[58:59] offset0:10 offset1:153
.LBB0_11:
	s_or_b64 exec, exec, s[0:1]
	s_waitcnt lgkmcnt(0)
	s_barrier
	s_and_saveexec_b64 s[0:1], s[6:7]
	s_cbranch_execz .LBB0_13
; %bb.12:
	v_mov_b32_e32 v63, 0
	v_lshl_add_u64 v[74:75], s[12:13], 0, v[62:63]
	v_add_co_u32_e32 v78, vcc, 0x1000, v74
	ds_read2_b64 v[70:73], v140 offset1:66
	s_nop 0
	v_addc_co_u32_e32 v79, vcc, 0, v75, vcc
	global_load_dwordx2 v[78:79], v[78:79], off offset:2768
	s_mov_b64 s[14:15], 0x1ad0
	v_lshl_add_u64 v[76:77], v[74:75], 0, s[14:15]
	s_movk_i32 s14, 0x2000
	s_waitcnt vmcnt(0) lgkmcnt(0)
	v_mul_f32_e32 v63, v71, v79
	v_mul_f32_e32 v81, v70, v79
	v_fma_f32 v80, v70, v78, -v63
	v_fmac_f32_e32 v81, v71, v78
	global_load_dwordx2 v[70:71], v[76:77], off offset:528
	s_waitcnt vmcnt(0)
	v_mul_f32_e32 v63, v73, v71
	v_mul_f32_e32 v79, v72, v71
	v_fma_f32 v78, v72, v70, -v63
	v_fmac_f32_e32 v79, v73, v70
	ds_write2_b64 v140, v[80:81], v[78:79] offset1:66
	global_load_dwordx2 v[78:79], v[76:77], off offset:1056
	ds_read2_b64 v[70:73], v140 offset0:132 offset1:198
	s_waitcnt vmcnt(0) lgkmcnt(0)
	v_mul_f32_e32 v63, v71, v79
	v_mul_f32_e32 v81, v70, v79
	v_fma_f32 v80, v70, v78, -v63
	v_fmac_f32_e32 v81, v71, v78
	global_load_dwordx2 v[70:71], v[76:77], off offset:1584
	s_waitcnt vmcnt(0)
	v_mul_f32_e32 v63, v73, v71
	v_mul_f32_e32 v79, v72, v71
	v_fma_f32 v78, v72, v70, -v63
	v_fmac_f32_e32 v79, v73, v70
	ds_write2_b64 v140, v[80:81], v[78:79] offset0:132 offset1:198
	global_load_dwordx2 v[78:79], v[76:77], off offset:2112
	v_add_u32_e32 v63, 0x800, v140
	ds_read2_b64 v[70:73], v63 offset0:8 offset1:74
	s_waitcnt vmcnt(0) lgkmcnt(0)
	v_mul_f32_e32 v80, v71, v79
	v_mul_f32_e32 v81, v70, v79
	v_fma_f32 v80, v70, v78, -v80
	v_fmac_f32_e32 v81, v71, v78
	global_load_dwordx2 v[70:71], v[76:77], off offset:2640
	s_waitcnt vmcnt(0)
	v_mul_f32_e32 v78, v73, v71
	v_mul_f32_e32 v79, v72, v71
	v_fma_f32 v78, v72, v70, -v78
	v_fmac_f32_e32 v79, v73, v70
	ds_write2_b64 v63, v[80:81], v[78:79] offset0:8 offset1:74
	global_load_dwordx2 v[78:79], v[76:77], off offset:3168
	ds_read2_b64 v[70:73], v63 offset0:140 offset1:206
	s_waitcnt vmcnt(0) lgkmcnt(0)
	v_mul_f32_e32 v80, v71, v79
	v_mul_f32_e32 v81, v70, v79
	v_fma_f32 v80, v70, v78, -v80
	v_fmac_f32_e32 v81, v71, v78
	global_load_dwordx2 v[70:71], v[76:77], off offset:3696
	s_waitcnt vmcnt(0)
	v_mul_f32_e32 v76, v73, v71
	v_mul_f32_e32 v77, v72, v71
	v_fma_f32 v76, v72, v70, -v76
	v_fmac_f32_e32 v77, v73, v70
	ds_write2_b64 v63, v[80:81], v[76:77] offset0:140 offset1:206
	v_add_co_u32_e32 v76, vcc, s14, v74
	v_add_u32_e32 v63, 0x1000, v140
	s_nop 0
	v_addc_co_u32_e32 v77, vcc, 0, v75, vcc
	global_load_dwordx2 v[78:79], v[76:77], off offset:2896
	ds_read2_b64 v[70:73], v63 offset0:16 offset1:82
	s_movk_i32 s14, 0x3000
	s_waitcnt vmcnt(0) lgkmcnt(0)
	v_mul_f32_e32 v80, v71, v79
	v_mul_f32_e32 v81, v70, v79
	v_fma_f32 v80, v70, v78, -v80
	v_fmac_f32_e32 v81, v71, v78
	global_load_dwordx2 v[70:71], v[76:77], off offset:3424
	s_waitcnt vmcnt(0)
	v_mul_f32_e32 v78, v73, v71
	global_load_dwordx2 v[76:77], v[76:77], off offset:3952
	v_mul_f32_e32 v79, v72, v71
	v_fma_f32 v78, v72, v70, -v78
	v_fmac_f32_e32 v79, v73, v70
	ds_read2_b64 v[70:73], v63 offset0:148 offset1:214
	ds_write2_b64 v63, v[80:81], v[78:79] offset0:16 offset1:82
	s_waitcnt vmcnt(0) lgkmcnt(1)
	v_mul_f32_e32 v78, v71, v77
	v_fma_f32 v78, v70, v76, -v78
	v_mul_f32_e32 v79, v70, v77
	v_add_co_u32_e32 v70, vcc, s14, v74
	v_fmac_f32_e32 v79, v71, v76
	s_nop 0
	v_addc_co_u32_e32 v71, vcc, 0, v75, vcc
	global_load_dwordx2 v[74:75], v[70:71], off offset:384
	s_waitcnt vmcnt(0)
	v_mul_f32_e32 v76, v73, v75
	global_load_dwordx2 v[70:71], v[70:71], off offset:912
	v_mul_f32_e32 v77, v72, v75
	v_fma_f32 v76, v72, v74, -v76
	v_fmac_f32_e32 v77, v73, v74
	ds_read_b64 v[72:73], v140 offset:6336
	ds_write2_b64 v63, v[78:79], v[76:77] offset0:148 offset1:214
	s_waitcnt vmcnt(0) lgkmcnt(1)
	v_mul_f32_e32 v63, v73, v71
	v_mul_f32_e32 v75, v72, v71
	v_fma_f32 v74, v72, v70, -v63
	v_fmac_f32_e32 v75, v73, v70
	ds_write_b64 v140, v[74:75] offset:6336
.LBB0_13:
	s_or_b64 exec, exec, s[0:1]
	s_waitcnt lgkmcnt(0)
	s_barrier
	s_and_saveexec_b64 s[0:1], s[6:7]
	s_cbranch_execz .LBB0_15
; %bb.14:
	v_add_u32_e32 v48, 0x800, v140
	v_add_u32_e32 v56, 0x1000, v140
	ds_read2_b64 v[40:43], v140 offset1:66
	ds_read2_b64 v[44:47], v140 offset0:132 offset1:198
	ds_read2_b64 v[36:39], v48 offset0:8 offset1:74
	;; [unrolled: 1-line block ×5, first 2 shown]
	ds_read_b64 v[64:65], v140 offset:6336
.LBB0_15:
	s_or_b64 exec, exec, s[0:1]
	s_waitcnt lgkmcnt(0)
	v_pk_add_f32 v[70:71], v[42:43], v[64:65] neg_lo:[0,1] neg_hi:[0,1]
	v_pk_add_f32 v[112:113], v[42:43], v[64:65]
	v_mov_b32_e32 v91, v70
	v_mov_b32_e32 v90, v112
	v_mov_b32_e32 v112, v71
	v_pk_add_f32 v[70:71], v[44:45], v[58:59] neg_lo:[0,1] neg_hi:[0,1]
	v_pk_add_f32 v[110:111], v[44:45], v[58:59]
	v_mov_b32_e32 v93, v70
	v_mov_b32_e32 v92, v110
	v_mov_b32_e32 v110, v71
	;; [unrolled: 5-line block ×3, first 2 shown]
	v_pk_add_f32 v[70:71], v[36:37], v[54:55] neg_lo:[0,1] neg_hi:[0,1]
	v_pk_add_f32 v[106:107], v[36:37], v[54:55]
	s_mov_b32 s42, 0xbf52af12
	v_mov_b32_e32 v96, v106
	v_mov_b32_e32 v97, v70
	;; [unrolled: 1-line block ×3, first 2 shown]
	v_pk_add_f32 v[70:71], v[38:39], v[52:53] neg_lo:[0,1] neg_hi:[0,1]
	v_pk_add_f32 v[104:105], v[38:39], v[52:53]
	s_mov_b32 s43, 0x3f116cb1
	s_mov_b32 s36, 0xbf6f5d39
	v_mov_b32_e32 v98, v104
	v_mov_b32_e32 v99, v70
	;; [unrolled: 1-line block ×3, first 2 shown]
	v_pk_add_f32 v[70:71], v[48:49], v[50:51] neg_lo:[0,1] neg_hi:[0,1]
	v_pk_add_f32 v[102:103], v[48:49], v[50:51]
	v_pk_mul_f32 v[114:115], v[112:113], s[42:43]
	s_mov_b32 s0, s43
	s_mov_b32 s1, s42
	;; [unrolled: 1-line block ×3, first 2 shown]
	v_mov_b32_e32 v100, v102
	v_mov_b32_e32 v101, v70
	;; [unrolled: 1-line block ×3, first 2 shown]
	v_pk_fma_f32 v[70:71], v[90:91], s[0:1], v[114:115] neg_lo:[0,0,1] neg_hi:[0,0,1]
	v_pk_fma_f32 v[116:117], v[90:91], s[0:1], v[114:115]
	v_pk_mul_f32 v[118:119], v[110:111], s[36:37]
	s_mov_b32 s14, s37
	s_mov_b32 s15, s36
	v_mov_b32_e32 v71, v117
	v_pk_fma_f32 v[122:123], v[92:93], s[14:15], v[118:119] neg_lo:[0,0,1] neg_hi:[0,0,1]
	v_pk_fma_f32 v[120:121], v[92:93], s[14:15], v[118:119]
	s_mov_b32 s40, 0xbe750f2a
	v_pk_add_f32 v[70:71], v[40:41], v[70:71]
	v_mov_b32_e32 v123, v121
	s_mov_b32 s41, 0xbf788fa5
	v_pk_add_f32 v[70:71], v[122:123], v[70:71]
	v_pk_mul_f32 v[122:123], v[108:109], s[40:41]
	s_mov_b32 s18, s41
	s_mov_b32 s19, s40
	v_pk_fma_f32 v[126:127], v[94:95], s[18:19], v[122:123] neg_lo:[0,0,1] neg_hi:[0,0,1]
	v_pk_fma_f32 v[124:125], v[94:95], s[18:19], v[122:123]
	s_mov_b32 s48, 0x3f29c268
	v_mov_b32_e32 v127, v125
	s_mov_b32 s49, 0xbf3f9e67
	v_pk_add_f32 v[70:71], v[126:127], v[70:71]
	v_pk_mul_f32 v[126:127], v[106:107], s[48:49]
	s_mov_b32 s24, s49
	s_mov_b32 s25, s48
	v_pk_fma_f32 v[130:131], v[96:97], s[24:25], v[126:127] neg_lo:[0,0,1] neg_hi:[0,0,1]
	v_pk_fma_f32 v[128:129], v[96:97], s[24:25], v[126:127]
	s_mov_b32 s38, 0x3f7e222b
	;; [unrolled: 9-line block ×3, first 2 shown]
	v_mov_b32_e32 v135, v133
	s_mov_b32 s45, 0x3f62ad3f
	v_pk_add_f32 v[70:71], v[134:135], v[70:71]
	v_pk_mul_f32 v[134:135], v[102:103], s[44:45]
	s_mov_b32 s22, s45
	s_mov_b32 s23, s44
	v_pk_fma_f32 v[144:145], v[100:101], s[22:23], v[134:135] neg_lo:[0,0,1] neg_hi:[0,0,1]
	v_pk_fma_f32 v[136:137], v[100:101], s[22:23], v[134:135]
	v_mov_b32_e32 v84, v18
	v_mov_b32_e32 v145, v137
	;; [unrolled: 1-line block ×28, first 2 shown]
	v_pk_add_f32 v[70:71], v[144:145], v[70:71]
	s_barrier
	s_and_saveexec_b64 s[20:21], s[6:7]
	s_cbranch_execz .LBB0_17
; %bb.16:
	v_pk_add_f32 v[42:43], v[42:43], v[40:41]
	s_mov_b32 s27, 0xbeedf032
	v_pk_add_f32 v[42:43], v[44:45], v[42:43]
	v_pk_mul_f32 v[144:145], v[90:91], s[0:1]
	v_pk_add_f32 v[42:43], v[46:47], v[42:43]
	s_mov_b32 s28, s27
	v_pk_add_f32 v[36:37], v[36:37], v[42:43]
	s_mov_b32 s29, s45
	;; [unrolled: 2-line block ×3, first 2 shown]
	v_pk_add_f32 v[36:37], v[48:49], v[36:37]
	v_pk_mul_f32 v[38:39], v[112:113], s[28:29]
	v_pk_add_f32 v[36:37], v[50:51], v[36:37]
	v_pk_add_f32 v[114:115], v[114:115], v[144:145] neg_lo:[0,1] neg_hi:[0,1]
	v_pk_add_f32 v[36:37], v[52:53], v[36:37]
	v_pk_mul_f32 v[146:147], v[92:93], s[14:15]
	v_pk_add_f32 v[36:37], v[54:55], v[36:37]
	v_lshl_add_u32 v63, v142, 3, v138
	v_pk_add_f32 v[36:37], v[56:57], v[36:37]
	v_pk_fma_f32 v[42:43], v[90:91], s[26:27], v[38:39] neg_lo:[1,0,0] neg_hi:[1,0,0]
	v_pk_add_f32 v[36:37], v[58:59], v[36:37]
	v_mov_b32_e32 v117, v115
	v_pk_add_f32 v[142:143], v[64:65], v[36:37]
	v_pk_fma_f32 v[36:37], v[90:91], s[26:27], v[38:39]
	v_pk_mul_f32 v[148:149], v[94:95], s[18:19]
	v_mov_b32_e32 v42, v36
	v_pk_mul_f32 v[44:45], v[110:111], s[42:43]
	v_pk_add_f32 v[114:115], v[40:41], v[116:117]
	v_pk_add_f32 v[116:117], v[118:119], v[146:147] neg_lo:[0,1] neg_hi:[0,1]
	v_pk_mul_f32 v[150:151], v[96:97], s[24:25]
	v_pk_add_f32 v[46:47], v[40:41], v[42:43]
	v_pk_fma_f32 v[42:43], v[92:93], s[0:1], v[44:45]
	v_pk_fma_f32 v[48:49], v[92:93], s[0:1], v[44:45] neg_lo:[1,0,0] neg_hi:[1,0,0]
	s_mov_b32 s29, 0xbf7e222b
	v_mov_b32_e32 v121, v117
	v_pk_add_f32 v[116:117], v[122:123], v[148:149] neg_lo:[0,1] neg_hi:[0,1]
	v_pk_mul_f32 v[152:153], v[98:99], s[34:35]
	v_mov_b32_e32 v48, v42
	s_mov_b32 s52, s29
	s_mov_b32 s53, s39
	v_pk_add_f32 v[114:115], v[120:121], v[114:115]
	v_mov_b32_e32 v125, v117
	v_pk_add_f32 v[116:117], v[126:127], v[150:151] neg_lo:[0,1] neg_hi:[0,1]
	v_pk_mul_f32 v[154:155], v[100:101], s[22:23]
	v_pk_add_f32 v[50:51], v[48:49], v[46:47]
	s_mov_b32 s28, s39
	v_pk_mul_f32 v[48:49], v[108:109], s[52:53]
	v_pk_add_f32 v[114:115], v[124:125], v[114:115]
	v_mov_b32_e32 v129, v117
	v_pk_add_f32 v[116:117], v[130:131], v[152:153] neg_lo:[0,1] neg_hi:[0,1]
	v_pk_fma_f32 v[46:47], v[94:95], s[28:29], v[48:49]
	v_pk_fma_f32 v[52:53], v[94:95], s[28:29], v[48:49] neg_lo:[1,0,0] neg_hi:[1,0,0]
	v_pk_add_f32 v[114:115], v[128:129], v[114:115]
	v_mov_b32_e32 v133, v117
	v_pk_add_f32 v[116:117], v[134:135], v[154:155] neg_lo:[0,1] neg_hi:[0,1]
	v_mov_b32_e32 v52, v46
	v_pk_add_f32 v[114:115], v[132:133], v[114:115]
	v_mov_b32_e32 v137, v117
	v_pk_mul_f32 v[116:117], v[112:113], s[52:53]
	v_pk_add_f32 v[54:55], v[52:53], v[50:51]
	v_pk_mul_f32 v[52:53], v[106:107], s[36:37]
	v_pk_add_f32 v[124:125], v[136:137], v[114:115]
	v_pk_fma_f32 v[114:115], v[90:91], s[28:29], v[116:117]
	v_pk_fma_f32 v[118:119], v[90:91], s[28:29], v[116:117] neg_lo:[1,0,0] neg_hi:[1,0,0]
	v_pk_fma_f32 v[50:51], v[96:97], s[14:15], v[52:53]
	v_pk_fma_f32 v[56:57], v[96:97], s[14:15], v[52:53] neg_lo:[1,0,0] neg_hi:[1,0,0]
	s_mov_b32 s31, 0xbf29c268
	v_mov_b32_e32 v118, v114
	v_pk_mul_f32 v[120:121], v[110:111], s[40:41]
	s_mov_b32 s47, 0x3f6f5d39
	v_mov_b32_e32 v56, v50
	s_mov_b32 s50, s31
	s_mov_b32 s51, s49
	v_pk_add_f32 v[122:123], v[40:41], v[118:119]
	v_pk_fma_f32 v[118:119], v[92:93], s[18:19], v[120:121]
	v_pk_fma_f32 v[126:127], v[92:93], s[18:19], v[120:121] neg_lo:[1,0,0] neg_hi:[1,0,0]
	s_mov_b32 s54, s47
	s_mov_b32 s55, s37
	v_pk_add_f32 v[58:59], v[56:57], v[54:55]
	s_mov_b32 s30, s49
	v_pk_mul_f32 v[56:57], v[104:105], s[50:51]
	v_mov_b32_e32 v126, v118
	s_mov_b32 s46, s37
	v_pk_mul_f32 v[128:129], v[108:109], s[54:55]
	v_pk_fma_f32 v[54:55], v[98:99], s[30:31], v[56:57]
	v_pk_fma_f32 v[64:65], v[98:99], s[30:31], v[56:57] neg_lo:[1,0,0] neg_hi:[1,0,0]
	v_pk_add_f32 v[126:127], v[126:127], v[122:123]
	v_pk_fma_f32 v[122:123], v[94:95], s[46:47], v[128:129]
	v_pk_fma_f32 v[130:131], v[94:95], s[46:47], v[128:129] neg_lo:[1,0,0] neg_hi:[1,0,0]
	v_mov_b32_e32 v64, v54
	v_mov_b32_e32 v130, v122
	v_pk_add_f32 v[156:157], v[64:65], v[58:59]
	v_pk_mul_f32 v[64:65], v[102:103], s[40:41]
	v_pk_add_f32 v[126:127], v[130:131], v[126:127]
	v_pk_mul_f32 v[130:131], v[106:107], s[44:45]
	v_pk_fma_f32 v[58:59], v[100:101], s[18:19], v[64:65]
	v_pk_fma_f32 v[158:159], v[100:101], s[18:19], v[64:65] neg_lo:[1,0,0] neg_hi:[1,0,0]
	v_pk_fma_f32 v[132:133], v[96:97], s[22:23], v[130:131]
	v_pk_fma_f32 v[134:135], v[96:97], s[22:23], v[130:131] neg_lo:[1,0,0] neg_hi:[1,0,0]
	v_mov_b32_e32 v158, v58
	v_mov_b32_e32 v134, v132
	v_pk_add_f32 v[156:157], v[158:159], v[156:157]
	v_pk_add_f32 v[126:127], v[134:135], v[126:127]
	v_pk_mul_f32 v[134:135], v[104:105], s[42:43]
	ds_write2_b64 v63, v[142:143], v[156:157] offset1:1
	v_pk_fma_f32 v[136:137], v[98:99], s[0:1], v[134:135]
	v_pk_fma_f32 v[142:143], v[98:99], s[0:1], v[134:135] neg_lo:[1,0,0] neg_hi:[1,0,0]
	v_pk_mul_f32 v[148:149], v[110:111], s[48:49]
	v_mov_b32_e32 v142, v136
	v_pk_add_f32 v[126:127], v[142:143], v[126:127]
	v_pk_mul_f32 v[142:143], v[102:103], s[50:51]
	v_pk_fma_f32 v[150:151], v[92:93], s[24:25], v[148:149]
	v_pk_fma_f32 v[144:145], v[100:101], s[30:31], v[142:143]
	v_pk_fma_f32 v[146:147], v[100:101], s[30:31], v[142:143] neg_lo:[1,0,0] neg_hi:[1,0,0]
	v_pk_fma_f32 v[152:153], v[92:93], s[24:25], v[148:149] neg_lo:[1,0,0] neg_hi:[1,0,0]
	v_mov_b32_e32 v146, v144
	v_pk_add_f32 v[126:127], v[146:147], v[126:127]
	ds_write2_b64 v63, v[124:125], v[126:127] offset0:2 offset1:3
	v_pk_mul_f32 v[124:125], v[112:113], s[36:37]
	v_mov_b32_e32 v152, v150
	v_pk_fma_f32 v[126:127], v[90:91], s[14:15], v[124:125]
	v_pk_fma_f32 v[146:147], v[90:91], s[14:15], v[124:125] neg_lo:[1,0,0] neg_hi:[1,0,0]
	s_mov_b32 s49, 0x3e750f2a
	v_mov_b32_e32 v146, v126
	v_pk_add_f32 v[146:147], v[40:41], v[146:147]
	s_mov_b32 s54, s49
	v_pk_add_f32 v[146:147], v[152:153], v[146:147]
	v_pk_mul_f32 v[152:153], v[108:109], s[44:45]
	s_mov_b32 s55, s41
	v_pk_fma_f32 v[154:155], v[94:95], s[22:23], v[152:153]
	v_pk_fma_f32 v[156:157], v[94:95], s[22:23], v[152:153] neg_lo:[1,0,0] neg_hi:[1,0,0]
	s_mov_b32 s48, s41
	v_mov_b32_e32 v156, v154
	v_pk_add_f32 v[146:147], v[156:157], v[146:147]
	v_pk_mul_f32 v[156:157], v[106:107], s[52:53]
	s_mov_b32 s53, 0x3f52af12
	v_pk_fma_f32 v[158:159], v[96:97], s[28:29], v[156:157]
	v_pk_fma_f32 v[160:161], v[96:97], s[28:29], v[156:157] neg_lo:[1,0,0] neg_hi:[1,0,0]
	s_mov_b32 s56, s53
	v_mov_b32_e32 v160, v158
	;; [unrolled: 7-line block ×3, first 2 shown]
	v_pk_add_f32 v[146:147], v[164:165], v[146:147]
	v_pk_mul_f32 v[164:165], v[102:103], s[56:57]
	v_pk_mul_f32 v[174:175], v[110:111], s[38:39]
	v_pk_fma_f32 v[166:167], v[100:101], s[52:53], v[164:165]
	v_pk_fma_f32 v[168:169], v[100:101], s[52:53], v[164:165] neg_lo:[1,0,0] neg_hi:[1,0,0]
	v_pk_fma_f32 v[176:177], v[92:93], s[34:35], v[174:175]
	v_mov_b32_e32 v168, v166
	v_pk_add_f32 v[146:147], v[168:169], v[146:147]
	v_pk_mul_f32 v[168:169], v[112:113], s[50:51]
	v_pk_fma_f32 v[178:179], v[92:93], s[34:35], v[174:175] neg_lo:[1,0,0] neg_hi:[1,0,0]
	v_pk_fma_f32 v[170:171], v[90:91], s[30:31], v[168:169]
	v_pk_fma_f32 v[172:173], v[90:91], s[30:31], v[168:169] neg_lo:[1,0,0] neg_hi:[1,0,0]
	v_mov_b32_e32 v178, v176
	v_mov_b32_e32 v172, v170
	v_pk_add_f32 v[172:173], v[40:41], v[172:173]
	v_pk_mul_f32 v[112:113], v[112:113], s[40:41]
	v_pk_add_f32 v[172:173], v[178:179], v[172:173]
	v_pk_mul_f32 v[178:179], v[108:109], s[42:43]
	v_pk_mul_f32 v[110:111], v[110:111], s[44:45]
	v_pk_fma_f32 v[180:181], v[94:95], s[0:1], v[178:179]
	v_pk_fma_f32 v[182:183], v[94:95], s[0:1], v[178:179] neg_lo:[1,0,0] neg_hi:[1,0,0]
	v_pk_fma_f32 v[196:197], v[92:93], s[22:23], v[110:111] neg_lo:[1,0,0] neg_hi:[1,0,0]
	v_mov_b32_e32 v182, v180
	v_pk_add_f32 v[172:173], v[182:183], v[172:173]
	v_pk_mul_f32 v[182:183], v[106:107], s[54:55]
	v_pk_mul_f32 v[108:109], v[108:109], s[50:51]
	v_pk_fma_f32 v[184:185], v[96:97], s[48:49], v[182:183]
	v_pk_fma_f32 v[186:187], v[96:97], s[48:49], v[182:183] neg_lo:[1,0,0] neg_hi:[1,0,0]
	v_pk_fma_f32 v[198:199], v[94:95], s[30:31], v[108:109] neg_lo:[1,0,0] neg_hi:[1,0,0]
	v_mov_b32_e32 v186, v184
	;; [unrolled: 7-line block ×4, first 2 shown]
	v_pk_add_f32 v[172:173], v[194:195], v[172:173]
	ds_write2_b64 v63, v[146:147], v[172:173] offset0:4 offset1:5
	v_pk_fma_f32 v[146:147], v[90:91], s[18:19], v[112:113]
	v_pk_fma_f32 v[172:173], v[90:91], s[18:19], v[112:113] neg_lo:[1,0,0] neg_hi:[1,0,0]
	v_pk_fma_f32 v[194:195], v[92:93], s[22:23], v[110:111]
	v_mov_b32_e32 v172, v146
	v_pk_add_f32 v[172:173], v[40:41], v[172:173]
	v_mov_b32_e32 v196, v194
	v_pk_add_f32 v[172:173], v[196:197], v[172:173]
	v_pk_fma_f32 v[196:197], v[94:95], s[30:31], v[108:109]
	v_pk_fma_f32 v[112:113], v[90:91], s[18:19], v[112:113] neg_lo:[0,0,1] neg_hi:[0,0,1]
	v_mov_b32_e32 v198, v196
	v_pk_add_f32 v[172:173], v[198:199], v[172:173]
	v_pk_fma_f32 v[198:199], v[96:97], s[52:53], v[106:107]
	v_mov_b32_e32 v113, v147
	v_pk_fma_f32 v[110:111], v[92:93], s[22:23], v[110:111] neg_lo:[0,0,1] neg_hi:[0,0,1]
	v_mov_b32_e32 v200, v198
	v_pk_add_f32 v[112:113], v[40:41], v[112:113]
	v_mov_b32_e32 v111, v195
	v_pk_fma_f32 v[108:109], v[94:95], s[30:31], v[108:109] neg_lo:[0,0,1] neg_hi:[0,0,1]
	v_pk_add_f32 v[172:173], v[200:201], v[172:173]
	v_pk_fma_f32 v[200:201], v[98:99], s[14:15], v[104:105]
	v_pk_add_f32 v[110:111], v[110:111], v[112:113]
	v_mov_b32_e32 v109, v197
	v_pk_fma_f32 v[106:107], v[96:97], s[52:53], v[106:107] neg_lo:[0,0,1] neg_hi:[0,0,1]
	v_mov_b32_e32 v202, v200
	v_pk_mul_f32 v[102:103], v[102:103], s[38:39]
	v_pk_add_f32 v[108:109], v[108:109], v[110:111]
	v_mov_b32_e32 v107, v199
	v_pk_fma_f32 v[104:105], v[98:99], s[14:15], v[104:105] neg_lo:[0,0,1] neg_hi:[0,0,1]
	v_pk_add_f32 v[172:173], v[202:203], v[172:173]
	v_pk_fma_f32 v[202:203], v[100:101], s[34:35], v[102:103]
	v_pk_fma_f32 v[204:205], v[100:101], s[34:35], v[102:103] neg_lo:[1,0,0] neg_hi:[1,0,0]
	v_pk_add_f32 v[106:107], v[106:107], v[108:109]
	v_mov_b32_e32 v105, v201
	v_pk_fma_f32 v[102:103], v[100:101], s[34:35], v[102:103] neg_lo:[0,0,1] neg_hi:[0,0,1]
	v_mov_b32_e32 v204, v202
	v_pk_add_f32 v[104:105], v[104:105], v[106:107]
	v_mov_b32_e32 v103, v203
	v_pk_add_f32 v[172:173], v[204:205], v[172:173]
	v_pk_add_f32 v[102:103], v[102:103], v[104:105]
	ds_write2_b64 v63, v[172:173], v[102:103] offset0:6 offset1:7
	v_pk_fma_f32 v[102:103], v[90:91], s[30:31], v[168:169] neg_lo:[0,0,1] neg_hi:[0,0,1]
	v_pk_fma_f32 v[104:105], v[92:93], s[34:35], v[174:175] neg_lo:[0,0,1] neg_hi:[0,0,1]
	v_mov_b32_e32 v103, v171
	v_pk_add_f32 v[102:103], v[40:41], v[102:103]
	v_mov_b32_e32 v105, v177
	v_pk_add_f32 v[102:103], v[104:105], v[102:103]
	v_pk_fma_f32 v[104:105], v[94:95], s[0:1], v[178:179] neg_lo:[0,0,1] neg_hi:[0,0,1]
	v_pk_fma_f32 v[106:107], v[92:93], s[24:25], v[148:149] neg_lo:[0,0,1] neg_hi:[0,0,1]
	v_mov_b32_e32 v105, v181
	v_pk_add_f32 v[102:103], v[104:105], v[102:103]
	v_pk_fma_f32 v[104:105], v[96:97], s[48:49], v[182:183] neg_lo:[0,0,1] neg_hi:[0,0,1]
	v_mov_b32_e32 v107, v151
	v_mov_b32_e32 v105, v185
	v_pk_add_f32 v[102:103], v[104:105], v[102:103]
	v_pk_fma_f32 v[104:105], v[98:99], s[22:23], v[186:187] neg_lo:[0,0,1] neg_hi:[0,0,1]
	v_pk_fma_f32 v[38:39], v[90:91], s[26:27], v[38:39] neg_lo:[0,0,1] neg_hi:[0,0,1]
	v_mov_b32_e32 v105, v189
	v_pk_add_f32 v[102:103], v[104:105], v[102:103]
	v_pk_fma_f32 v[104:105], v[100:101], s[14:15], v[190:191] neg_lo:[0,0,1] neg_hi:[0,0,1]
	v_mov_b32_e32 v39, v37
	v_mov_b32_e32 v105, v193
	v_pk_add_f32 v[102:103], v[104:105], v[102:103]
	v_pk_fma_f32 v[104:105], v[90:91], s[14:15], v[124:125] neg_lo:[0,0,1] neg_hi:[0,0,1]
	v_pk_add_f32 v[36:37], v[40:41], v[38:39]
	v_mov_b32_e32 v105, v127
	v_pk_add_f32 v[104:105], v[40:41], v[104:105]
	v_pk_fma_f32 v[38:39], v[92:93], s[0:1], v[44:45] neg_lo:[0,0,1] neg_hi:[0,0,1]
	v_pk_add_f32 v[104:105], v[106:107], v[104:105]
	v_pk_fma_f32 v[106:107], v[94:95], s[22:23], v[152:153] neg_lo:[0,0,1] neg_hi:[0,0,1]
	v_mov_b32_e32 v39, v43
	v_mov_b32_e32 v107, v155
	v_pk_add_f32 v[104:105], v[106:107], v[104:105]
	v_pk_fma_f32 v[106:107], v[96:97], s[28:29], v[156:157] neg_lo:[0,0,1] neg_hi:[0,0,1]
	v_pk_add_f32 v[36:37], v[38:39], v[36:37]
	v_mov_b32_e32 v107, v159
	v_pk_add_f32 v[104:105], v[106:107], v[104:105]
	v_pk_fma_f32 v[106:107], v[98:99], s[48:49], v[160:161] neg_lo:[0,0,1] neg_hi:[0,0,1]
	v_pk_fma_f32 v[38:39], v[94:95], s[28:29], v[48:49] neg_lo:[0,0,1] neg_hi:[0,0,1]
	v_mov_b32_e32 v107, v163
	v_pk_add_f32 v[104:105], v[106:107], v[104:105]
	v_pk_fma_f32 v[106:107], v[100:101], s[52:53], v[164:165] neg_lo:[0,0,1] neg_hi:[0,0,1]
	v_mov_b32_e32 v39, v47
	v_mov_b32_e32 v107, v167
	v_pk_add_f32 v[104:105], v[106:107], v[104:105]
	ds_write2_b64 v63, v[102:103], v[104:105] offset0:8 offset1:9
	v_pk_fma_f32 v[102:103], v[90:91], s[28:29], v[116:117] neg_lo:[0,0,1] neg_hi:[0,0,1]
	v_pk_fma_f32 v[104:105], v[92:93], s[18:19], v[120:121] neg_lo:[0,0,1] neg_hi:[0,0,1]
	v_mov_b32_e32 v103, v115
	v_pk_add_f32 v[102:103], v[40:41], v[102:103]
	v_mov_b32_e32 v105, v119
	v_pk_add_f32 v[102:103], v[104:105], v[102:103]
	v_pk_fma_f32 v[104:105], v[94:95], s[46:47], v[128:129] neg_lo:[0,0,1] neg_hi:[0,0,1]
	v_pk_add_f32 v[36:37], v[38:39], v[36:37]
	v_mov_b32_e32 v105, v123
	v_pk_add_f32 v[102:103], v[104:105], v[102:103]
	v_pk_fma_f32 v[104:105], v[96:97], s[22:23], v[130:131] neg_lo:[0,0,1] neg_hi:[0,0,1]
	v_pk_fma_f32 v[38:39], v[96:97], s[14:15], v[52:53] neg_lo:[0,0,1] neg_hi:[0,0,1]
	v_mov_b32_e32 v105, v133
	v_mov_b32_e32 v39, v51
	v_pk_add_f32 v[102:103], v[104:105], v[102:103]
	v_pk_fma_f32 v[104:105], v[98:99], s[0:1], v[134:135] neg_lo:[0,0,1] neg_hi:[0,0,1]
	v_pk_add_f32 v[36:37], v[38:39], v[36:37]
	v_pk_fma_f32 v[38:39], v[98:99], s[30:31], v[56:57] neg_lo:[0,0,1] neg_hi:[0,0,1]
	v_mov_b32_e32 v105, v137
	v_mov_b32_e32 v39, v55
	v_pk_add_f32 v[102:103], v[104:105], v[102:103]
	v_pk_fma_f32 v[104:105], v[100:101], s[30:31], v[142:143] neg_lo:[0,0,1] neg_hi:[0,0,1]
	v_pk_add_f32 v[36:37], v[38:39], v[36:37]
	v_pk_fma_f32 v[38:39], v[100:101], s[18:19], v[64:65] neg_lo:[0,0,1] neg_hi:[0,0,1]
	v_mov_b32_e32 v105, v145
	v_mov_b32_e32 v39, v59
	v_pk_add_f32 v[102:103], v[104:105], v[102:103]
	v_pk_add_f32 v[36:37], v[38:39], v[36:37]
	ds_write2_b64 v63, v[102:103], v[70:71] offset0:10 offset1:11
	ds_write_b64 v63, v[36:37] offset:96
.LBB0_17:
	s_or_b64 exec, exec, s[20:21]
	s_waitcnt lgkmcnt(0)
	s_barrier
	ds_read2_b64 v[36:39], v139 offset1:78
	ds_read2_b64 v[40:43], v139 offset0:156 offset1:234
	v_mov_b32_e32 v44, v17
	v_add_u32_e32 v63, 0x800, v139
	v_add_u32_e32 v138, 0x1000, v139
	s_waitcnt lgkmcnt(1)
	v_pk_mul_f32 v[44:45], v[44:45], v[38:39] op_sel:[0,1] op_sel_hi:[1,0]
	s_waitcnt lgkmcnt(0)
	v_pk_mul_f32 v[12:13], v[12:13], v[42:43]
	v_pk_fma_f32 v[56:57], v[16:17], v[38:39], v[44:45]
	v_pk_mul_f32 v[44:45], v[16:17], v[38:39] op_sel:[0,1] op_sel_hi:[1,0]
	v_pk_fma_f32 v[92:93], v[82:83], v[42:43], v[12:13] op_sel:[0,0,1] op_sel_hi:[1,1,0]
	v_mov_b32_e32 v44, v45
	v_pk_fma_f32 v[58:59], v[16:17], v[38:39], v[44:45] op_sel:[0,1,0] op_sel_hi:[1,0,1] neg_lo:[0,0,1] neg_hi:[0,0,1]
	ds_read2_b64 v[44:47], v63 offset0:56 offset1:134
	v_add_u32_e32 v16, 0xc00, v139
	ds_read2_b64 v[48:51], v16 offset0:84 offset1:162
	v_pk_fma_f32 v[82:83], v[82:83], v[42:43], v[12:13] op_sel:[0,0,1] op_sel_hi:[1,1,0] neg_lo:[0,0,1] neg_hi:[0,0,1]
	ds_read2_b64 v[52:55], v138 offset0:112 offset1:190
	ds_read_b64 v[16:17], v139 offset:6240
	s_waitcnt lgkmcnt(3)
	v_pk_mul_f32 v[12:13], v[14:15], v[44:45]
	v_pk_mul_f32 v[8:9], v[8:9], v[46:47]
	v_pk_fma_f32 v[96:97], v[80:81], v[44:45], v[12:13] op_sel:[0,0,1] op_sel_hi:[1,1,0]
	v_pk_fma_f32 v[12:13], v[80:81], v[44:45], v[12:13] op_sel:[0,0,1] op_sel_hi:[1,1,0] neg_lo:[0,0,1] neg_hi:[0,0,1]
	v_pk_fma_f32 v[80:81], v[88:89], v[46:47], v[8:9] op_sel:[0,0,1] op_sel_hi:[1,1,0]
	v_pk_fma_f32 v[8:9], v[88:89], v[46:47], v[8:9] op_sel:[0,0,1] op_sel_hi:[1,1,0] neg_lo:[0,0,1] neg_hi:[0,0,1]
	s_waitcnt lgkmcnt(2)
	v_pk_mul_f32 v[4:5], v[4:5], v[50:51]
	v_mov_b32_e32 v81, v9
	v_pk_mul_f32 v[8:9], v[10:11], v[48:49]
	v_mov_b32_e32 v97, v13
	v_pk_fma_f32 v[46:47], v[86:87], v[48:49], v[8:9] op_sel:[0,0,1] op_sel_hi:[1,1,0]
	v_pk_fma_f32 v[8:9], v[86:87], v[48:49], v[8:9] op_sel:[0,0,1] op_sel_hi:[1,1,0] neg_lo:[0,0,1] neg_hi:[0,0,1]
	v_pk_fma_f32 v[48:49], v[78:79], v[50:51], v[4:5] op_sel:[0,0,1] op_sel_hi:[1,1,0]
	v_pk_fma_f32 v[4:5], v[78:79], v[50:51], v[4:5] op_sel:[0,0,1] op_sel_hi:[1,1,0] neg_lo:[0,0,1] neg_hi:[0,0,1]
	s_mov_b32 s27, 0xbe903f40
	v_mov_b32_e32 v49, v5
	s_mov_b32 s26, 0xbf0a6770
	v_mov_b32_e32 v47, v9
	s_waitcnt lgkmcnt(1)
	v_pk_mul_f32 v[4:5], v[6:7], v[52:53]
	v_pk_add_f32 v[88:89], v[96:97], v[48:49] neg_lo:[0,1] neg_hi:[0,1]
	s_mov_b32 s15, 0xbf75a155
	s_mov_b32 s14, 0x3f575c64
	;; [unrolled: 1-line block ×4, first 2 shown]
	v_pk_mul_f32 v[18:19], v[18:19], v[40:41]
	v_pk_fma_f32 v[6:7], v[76:77], v[52:53], v[4:5] op_sel:[0,0,1] op_sel_hi:[1,1,0]
	v_pk_fma_f32 v[50:51], v[76:77], v[52:53], v[4:5] op_sel:[0,0,1] op_sel_hi:[1,1,0] neg_lo:[0,0,1] neg_hi:[0,0,1]
	v_pk_add_f32 v[86:87], v[96:97], v[48:49]
	s_mov_b32 s0, s15
	s_mov_b32 s1, s14
	v_pk_mul_f32 v[4:5], v[88:89], s[18:19] op_sel:[1,0] op_sel_hi:[0,1]
	v_pk_add_f32 v[44:45], v[80:81], v[46:47] neg_lo:[0,1] neg_hi:[0,1]
	v_pk_fma_f32 v[64:65], v[84:85], v[40:41], v[18:19] op_sel:[0,0,1] op_sel_hi:[1,1,0]
	v_pk_fma_f32 v[84:85], v[84:85], v[40:41], v[18:19] op_sel:[0,0,1] op_sel_hi:[1,1,0] neg_lo:[0,0,1] neg_hi:[0,0,1]
	v_pk_fma_f32 v[40:41], v[86:87], s[0:1], v[4:5] neg_lo:[0,0,1] neg_hi:[0,0,1]
	v_pk_fma_f32 v[12:13], v[86:87], s[0:1], v[4:5]
	v_pk_add_f32 v[42:43], v[80:81], v[46:47]
	v_mov_b32_e32 v4, v45
	v_mov_b32_e32 v5, v89
	s_mov_b32 s19, 0xbf4178ce
	v_pk_mul_f32 v[0:1], v[0:1], v[54:55]
	s_waitcnt lgkmcnt(0)
	v_pk_mul_f32 v[2:3], v[2:3], v[16:17]
	s_mov_b32 s1, 0xbf27a4f4
	v_pk_mul_f32 v[98:99], v[4:5], s[18:19]
	v_mov_b32_e32 v4, v43
	v_mov_b32_e32 v5, v87
	v_pk_fma_f32 v[76:77], v[74:75], v[54:55], v[0:1] op_sel:[0,0,1] op_sel_hi:[1,1,0]
	v_pk_fma_f32 v[0:1], v[74:75], v[54:55], v[0:1] op_sel:[0,0,1] op_sel_hi:[1,1,0] neg_lo:[0,0,1] neg_hi:[0,0,1]
	v_pk_fma_f32 v[74:75], v[72:73], v[16:17], v[2:3] op_sel:[0,0,1] op_sel_hi:[1,1,0]
	v_pk_fma_f32 v[72:73], v[72:73], v[16:17], v[2:3] op_sel:[0,0,1] op_sel_hi:[1,1,0] neg_lo:[0,0,1] neg_hi:[0,0,1]
	v_pk_mul_f32 v[2:3], v[88:89], s[26:27] op_sel:[1,0] op_sel_hi:[0,1]
	v_pk_mul_f32 v[102:103], v[4:5], s[0:1]
	v_mov_b32_e32 v4, v44
	v_mov_b32_e32 v5, v88
	s_mov_b32 s23, 0x3f68dda4
	v_pk_fma_f32 v[16:17], v[86:87], s[14:15], v[2:3]
	v_pk_fma_f32 v[14:15], v[86:87], s[14:15], v[2:3] neg_lo:[0,0,1] neg_hi:[0,0,1]
	v_mov_b32_e32 v2, v42
	v_mov_b32_e32 v3, v86
	v_pk_mul_f32 v[104:105], v[4:5], s[18:19]
	v_pk_fma_f32 v[106:107], v[4:5], s[18:19], v[102:103] neg_lo:[1,0,0] neg_hi:[1,0,0]
	v_pk_fma_f32 v[4:5], v[4:5], s[18:19], v[102:103]
	s_mov_b32 s21, 0x3ed4b147
	s_mov_b32 s18, s23
	v_pk_fma_f32 v[100:101], v[2:3], s[0:1], v[98:99]
	v_pk_fma_f32 v[2:3], v[2:3], s[0:1], v[98:99] neg_lo:[0,0,1] neg_hi:[0,0,1]
	s_mov_b32 s22, s19
	s_mov_b32 s0, s21
	v_pk_mul_f32 v[18:19], v[44:45], s[18:19] op_sel:[1,0] op_sel_hi:[0,1]
	s_mov_b32 s20, s1
	v_pk_mul_f32 v[108:109], v[44:45], s[22:23] op_sel:[1,0] op_sel_hi:[0,1]
	v_pk_fma_f32 v[38:39], v[42:43], s[0:1], v[18:19]
	v_pk_fma_f32 v[110:111], v[42:43], s[0:1], v[18:19] neg_lo:[0,0,1] neg_hi:[0,0,1]
	v_mov_b32_e32 v18, v39
	v_pk_fma_f32 v[38:39], v[42:43], s[20:21], v[108:109] neg_lo:[0,0,1] neg_hi:[0,0,1]
	v_pk_fma_f32 v[108:109], v[42:43], s[20:21], v[108:109]
	v_mov_b32_e32 v90, v64
	v_mov_b32_e32 v39, v109
	;; [unrolled: 1-line block ×5, first 2 shown]
	v_pk_add_f32 v[108:109], v[36:37], v[108:109]
	v_mov_b32_e32 v94, v92
	v_mov_b32_e32 v95, v83
	v_pk_add_f32 v[90:91], v[108:109], v[90:91]
	v_mov_b32_e32 v52, v6
	v_pk_add_f32 v[90:91], v[90:91], v[94:95]
	;; [unrolled: 2-line block ×4, first 2 shown]
	v_pk_add_f32 v[90:91], v[82:83], v[50:51] neg_lo:[0,1] neg_hi:[0,1]
	v_pk_add_f32 v[46:47], v[80:81], v[46:47]
	v_pk_add_f32 v[80:81], v[92:93], v[6:7]
	;; [unrolled: 1-line block ×3, first 2 shown]
	v_pk_add_f32 v[6:7], v[92:93], v[6:7] neg_lo:[0,1] neg_hi:[0,1]
	v_mov_b32_e32 v55, v1
	v_mov_b32_e32 v78, v74
	v_pk_add_f32 v[46:47], v[46:47], v[52:53]
	v_pk_add_f32 v[48:49], v[82:83], v[50:51]
	v_mov_b32_e32 v7, v91
	s_mov_b32 s22, s26
	s_mov_b32 s28, s23
	;; [unrolled: 1-line block ×3, first 2 shown]
	v_pk_add_f32 v[116:117], v[56:57], v[74:75]
	v_pk_add_f32 v[56:57], v[56:57], v[74:75] neg_lo:[0,1] neg_hi:[0,1]
	v_pk_add_f32 v[74:75], v[58:59], v[72:73] op_sel:[0,1] neg_lo:[0,1] neg_hi:[0,1]
	v_pk_add_f32 v[58:59], v[58:59], v[72:73] op_sel_hi:[0,1]
	v_mov_b32_e32 v79, v73
	v_pk_add_f32 v[46:47], v[46:47], v[54:55]
	v_mov_b32_e32 v52, v49
	v_mov_b32_e32 v53, v80
	s_mov_b32 s20, s14
	v_pk_mul_f32 v[54:55], v[6:7], s[22:23]
	v_pk_mul_f32 v[94:95], v[6:7], s[28:29]
	v_mov_b32_e32 v72, v116
	v_mov_b32_e32 v73, v74
	s_mov_b32 s28, s14
	v_mov_b32_e32 v57, v59
	s_mov_b32 s30, s26
	s_mov_b32 s31, s14
	v_pk_fma_f32 v[92:93], v[52:53], s[20:21], v[54:55]
	v_pk_fma_f32 v[108:109], v[52:53], s[20:21], v[54:55] neg_lo:[0,0,1] neg_hi:[0,0,1]
	v_pk_mul_f32 v[118:119], v[72:73], s[28:29]
	v_pk_mul_f32 v[120:121], v[56:57], s[30:31]
	s_mov_b32 s20, 0xbf68dda4
	v_pk_add_f32 v[128:129], v[64:65], v[76:77]
	v_pk_add_f32 v[64:65], v[64:65], v[76:77] neg_lo:[0,1] neg_hi:[0,1]
	v_pk_add_f32 v[76:77], v[84:85], v[0:1] neg_lo:[0,1] neg_hi:[0,1]
	v_mov_b32_e32 v10, v14
	v_mov_b32_e32 v14, v119
	;; [unrolled: 1-line block ×5, first 2 shown]
	s_mov_b32 s38, 0xbf7d64f0
	s_mov_b32 s39, s20
	v_mov_b32_e32 v117, v56
	v_pk_fma_f32 v[118:119], v[72:73], s[28:29], v[14:15]
	v_pk_fma_f32 v[120:121], v[56:57], s[30:31], v[6:7] neg_lo:[0,0,1] neg_hi:[0,0,1]
	v_pk_fma_f32 v[72:73], v[72:73], s[28:29], v[14:15] neg_lo:[0,0,1] neg_hi:[0,0,1]
	v_pk_fma_f32 v[56:57], v[56:57], s[30:31], v[6:7]
	s_mov_b32 s28, s21
	s_mov_b32 s29, s20
	v_pk_add_f32 v[84:85], v[84:85], v[0:1]
	v_mov_b32_e32 v0, v80
	v_mov_b32_e32 v1, v128
	s_mov_b32 s30, 0xbe11bafb
	s_mov_b32 s31, s21
	v_pk_mul_f32 v[130:131], v[130:131], s[38:39]
	s_mov_b32 s18, s1
	v_mov_b32_e32 v58, v74
	v_pk_mul_f32 v[122:123], v[116:117], s[28:29]
	v_mov_b32_e32 v129, v64
	v_pk_fma_f32 v[132:133], v[0:1], s[30:31], v[130:131]
	v_pk_fma_f32 v[130:131], v[0:1], s[30:31], v[130:131] neg_lo:[0,0,1] neg_hi:[0,0,1]
	v_mov_b32_e32 v0, v49
	v_mov_b32_e32 v1, v85
	s_mov_b32 s0, s19
	v_pk_fma_f32 v[124:125], v[74:75], s[20:21], v[122:123] neg_lo:[1,0,0] neg_hi:[1,0,0]
	v_pk_fma_f32 v[126:127], v[58:59], s[20:21], v[122:123]
	v_mov_b32_e32 v84, v77
	v_pk_mul_f32 v[0:1], v[0:1], s[30:31]
	v_mov_b32_e32 v7, v64
	v_pk_mul_f32 v[136:137], v[128:129], s[18:19]
	v_mov_b32_e32 v125, v127
	v_pk_fma_f32 v[64:65], v[6:7], s[38:39], v[0:1] neg_lo:[1,0,0] neg_hi:[1,0,0]
	v_pk_fma_f32 v[134:135], v[6:7], s[38:39], v[0:1]
	v_pk_fma_f32 v[0:1], v[76:77], s[0:1], v[136:137] op_sel:[1,0,0] neg_lo:[1,0,0] neg_hi:[1,0,0]
	v_pk_fma_f32 v[142:143], v[84:85], s[0:1], v[136:137]
	s_mov_b32 s28, 0x3f0a6770
	s_mov_b32 s26, s15
	v_mov_b32_e32 v1, v143
	v_pk_add_f32 v[124:125], v[36:37], v[124:125]
	s_mov_b32 s34, s27
	s_mov_b32 s35, s15
	v_pk_mul_f32 v[150:151], v[116:117], s[26:27]
	s_mov_b32 s26, s14
	s_mov_b32 s27, s28
	v_pk_mul_f32 v[144:145], v[44:45], s[28:29] op_sel:[1,0] op_sel_hi:[0,0]
	v_pk_fma_f32 v[74:75], v[74:75], s[34:35], v[150:151] neg_lo:[1,0,0] neg_hi:[1,0,0]
	v_pk_fma_f32 v[152:153], v[58:59], s[34:35], v[150:151]
	v_pk_add_f32 v[0:1], v[0:1], v[124:125]
	s_mov_b32 s29, s14
	v_pk_mul_f32 v[124:125], v[128:129], s[26:27]
	s_mov_b32 s25, s14
	v_pk_fma_f32 v[146:147], v[42:43], s[14:15], v[144:145] op_sel_hi:[1,0,1] neg_lo:[0,0,1] neg_hi:[0,0,1]
	v_pk_fma_f32 v[144:145], v[42:43], s[14:15], v[144:145] op_sel_hi:[1,0,1]
	v_mov_b32_e32 v75, v153
	v_pk_fma_f32 v[76:77], v[76:77], s[28:29], v[124:125] op_sel:[1,0,0] neg_lo:[1,0,0] neg_hi:[1,0,0]
	v_pk_fma_f32 v[154:155], v[84:85], s[28:29], v[124:125]
	s_mov_b32 s14, 0x3e903f40
	v_mov_b32_e32 v81, v6
	s_mov_b32 s24, s21
	v_pk_add_f32 v[74:75], v[36:37], v[74:75]
	v_mov_b32_e32 v77, v155
	s_mov_b32 s26, s15
	s_mov_b32 s27, s14
	v_mov_b32_e32 v48, v91
	v_pk_mul_f32 v[50:51], v[80:81], s[18:19]
	v_pk_fma_f32 v[96:97], v[52:53], s[24:25], v[94:95] neg_lo:[0,0,1] neg_hi:[0,0,1]
	v_pk_fma_f32 v[94:95], v[52:53], s[24:25], v[94:95]
	s_mov_b32 s24, s23
	s_mov_b32 s36, 0x3f7d64f0
	v_pk_add_f32 v[74:75], v[76:77], v[74:75]
	v_pk_mul_f32 v[76:77], v[80:81], s[26:27]
	v_pk_fma_f32 v[82:83], v[90:91], s[0:1], v[50:51] op_sel:[1,0,0] neg_lo:[1,0,0] neg_hi:[1,0,0]
	s_mov_b32 s22, s21
	v_pk_mul_f32 v[52:53], v[88:89], s[24:25] op_sel:[1,0] op_sel_hi:[0,0]
	v_pk_mul_f32 v[6:7], v[88:89], s[36:37] op_sel:[1,0] op_sel_hi:[0,0]
	v_pk_fma_f32 v[80:81], v[90:91], s[14:15], v[76:77] op_sel:[1,0,0] neg_lo:[1,0,0] neg_hi:[1,0,0]
	v_pk_fma_f32 v[90:91], v[48:49], s[14:15], v[76:77]
	v_pk_fma_f32 v[54:55], v[86:87], s[22:23], v[52:53] op_sel_hi:[1,0,1] neg_lo:[0,0,1] neg_hi:[0,0,1]
	v_pk_fma_f32 v[52:53], v[86:87], s[22:23], v[52:53] op_sel_hi:[1,0,1]
	v_pk_fma_f32 v[88:89], v[86:87], s[30:31], v[6:7] op_sel_hi:[1,0,1] neg_lo:[0,0,1] neg_hi:[0,0,1]
	v_pk_fma_f32 v[86:87], v[86:87], s[30:31], v[6:7] op_sel_hi:[1,0,1]
	v_mov_b32_e32 v81, v91
	v_mov_b32_e32 v6, v88
	;; [unrolled: 1-line block ×3, first 2 shown]
	v_pk_add_f32 v[0:1], v[80:81], v[0:1]
	v_pk_add_f32 v[78:79], v[46:47], v[78:79]
	v_pk_fma_f32 v[46:47], v[48:49], s[0:1], v[50:51]
	v_mov_b32_e32 v148, v146
	v_mov_b32_e32 v149, v145
	v_pk_add_f32 v[0:1], v[6:7], v[0:1]
	v_mov_b32_e32 v83, v47
	v_pk_add_f32 v[6:7], v[148:149], v[0:1]
	v_pk_mul_f32 v[0:1], v[44:45], s[38:39] op_sel:[1,0] op_sel_hi:[0,0]
	v_mov_b32_e32 v114, v54
	v_mov_b32_e32 v115, v53
	v_pk_add_f32 v[74:75], v[82:83], v[74:75]
	v_pk_fma_f32 v[80:81], v[42:43], s[30:31], v[0:1] op_sel_hi:[1,0,1] neg_lo:[0,0,1] neg_hi:[0,0,1]
	v_pk_fma_f32 v[82:83], v[42:43], s[30:31], v[0:1] op_sel_hi:[1,0,1]
	v_mov_b32_e32 v8, v13
	v_pk_add_f32 v[74:75], v[114:115], v[74:75]
	v_mov_b32_e32 v0, v80
	v_mov_b32_e32 v1, v83
	;; [unrolled: 1-line block ×5, first 2 shown]
	v_pk_add_f32 v[0:1], v[0:1], v[74:75]
	v_pk_add_f32 v[74:75], v[12:13], v[98:99] neg_lo:[0,1] neg_hi:[0,1]
	v_pk_add_f32 v[98:99], v[36:37], v[118:119]
	v_mov_b32_e32 v102, v133
	v_mov_b32_e32 v103, v65
	v_pk_add_f32 v[98:99], v[102:103], v[98:99]
	v_mov_b32_e32 v133, v64
	v_pk_add_f32 v[64:65], v[132:133], v[98:99]
	v_mov_b32_e32 v106, v101
	v_mov_b32_e32 v74, v100
	v_pk_add_f32 v[64:65], v[106:107], v[64:65]
	s_nop 0
	v_pk_add_f32 v[64:65], v[74:75], v[64:65]
	s_barrier
	ds_write2_b64 v141, v[78:79], v[64:65] offset1:13
	v_pk_fma_f32 v[64:65], v[58:59], s[20:21], v[122:123] neg_lo:[0,0,1] neg_hi:[0,0,1]
	v_pk_fma_f32 v[74:75], v[48:49], s[14:15], v[76:77] neg_lo:[0,0,1] neg_hi:[0,0,1]
	v_mov_b32_e32 v127, v65
	v_pk_fma_f32 v[64:65], v[84:85], s[0:1], v[136:137] neg_lo:[0,0,1] neg_hi:[0,0,1]
	s_mov_b32 s40, s19
	v_mov_b32_e32 v143, v65
	v_pk_add_f32 v[64:65], v[36:37], v[126:127]
	v_mov_b32_e32 v91, v75
	s_mov_b32 s20, s1
	v_pk_mul_f32 v[74:75], v[44:45], s[40:41] op_sel:[1,0] op_sel_hi:[0,0]
	v_pk_add_f32 v[64:65], v[142:143], v[64:65]
	v_pk_fma_f32 v[76:77], v[42:43], s[20:21], v[74:75] op_sel_hi:[1,0,1]
	v_pk_fma_f32 v[74:75], v[42:43], s[20:21], v[74:75] op_sel_hi:[1,0,1] neg_lo:[0,0,1] neg_hi:[0,0,1]
	s_mov_b32 s39, s30
	v_mov_b32_e32 v87, v89
	v_pk_add_f32 v[64:65], v[90:91], v[64:65]
	v_mov_b32_e32 v77, v75
	v_pk_mul_f32 v[74:75], v[58:59], s[38:39]
	s_mov_b32 s31, s38
	v_pk_add_f32 v[64:65], v[86:87], v[64:65]
	v_pk_fma_f32 v[78:79], v[116:117], s[30:31], v[74:75]
	v_pk_fma_f32 v[86:87], v[116:117], s[30:31], v[74:75] neg_lo:[1,0,0] neg_hi:[1,0,0]
	v_pk_mul_f32 v[88:89], v[84:85], s[14:15]
	v_mov_b32_e32 v86, v78
	v_pk_fma_f32 v[90:91], v[128:129], s[26:27], v[88:89]
	v_pk_fma_f32 v[98:99], v[128:129], s[26:27], v[88:89] neg_lo:[1,0,0] neg_hi:[1,0,0]
	v_pk_add_f32 v[86:87], v[36:37], v[86:87]
	v_mov_b32_e32 v98, v90
	v_mov_b32_e32 v112, v92
	v_pk_add_f32 v[86:87], v[98:99], v[86:87]
	v_mov_b32_e32 v92, v93
	v_mov_b32_e32 v93, v96
	;; [unrolled: 1-line block ×3, first 2 shown]
	v_pk_add_f32 v[86:87], v[92:93], v[86:87]
	v_mov_b32_e32 v17, v41
	v_mov_b32_e32 v145, v147
	v_pk_add_f32 v[16:17], v[16:17], v[86:87]
	v_pk_add_f32 v[64:65], v[144:145], v[64:65]
	;; [unrolled: 1-line block ×3, first 2 shown]
	ds_write2_b64 v141, v[64:65], v[16:17] offset0:26 offset1:39
	v_pk_mul_f32 v[16:17], v[44:45], s[24:25] op_sel:[1,0] op_sel_hi:[0,0]
	v_mov_b32_e32 v9, v40
	v_pk_fma_f32 v[40:41], v[42:43], s[22:23], v[16:17] op_sel_hi:[1,0,1]
	v_pk_fma_f32 v[16:17], v[42:43], s[22:23], v[16:17] op_sel_hi:[1,0,1] neg_lo:[0,0,1] neg_hi:[0,0,1]
	s_mov_b32 s37, s30
	v_mov_b32_e32 v41, v17
	v_pk_mul_f32 v[16:17], v[58:59], s[0:1]
	v_pk_fma_f32 v[74:75], v[116:117], s[30:31], v[74:75] neg_lo:[0,0,1] neg_hi:[0,0,1]
	v_pk_fma_f32 v[42:43], v[116:117], s[18:19], v[16:17]
	v_pk_fma_f32 v[44:45], v[116:117], s[18:19], v[16:17] neg_lo:[1,0,0] neg_hi:[1,0,0]
	v_pk_mul_f32 v[64:65], v[84:85], s[36:37]
	s_mov_b32 s31, s36
	v_mov_b32_e32 v44, v42
	v_pk_fma_f32 v[76:77], v[128:129], s[30:31], v[64:65]
	v_pk_fma_f32 v[86:87], v[128:129], s[30:31], v[64:65] neg_lo:[1,0,0] neg_hi:[1,0,0]
	v_pk_add_f32 v[44:45], v[36:37], v[44:45]
	v_mov_b32_e32 v86, v76
	v_pk_add_f32 v[44:45], v[86:87], v[44:45]
	v_mov_b32_e32 v86, v95
	v_mov_b32_e32 v87, v108
	v_pk_fma_f32 v[16:17], v[116:117], s[18:19], v[16:17] neg_lo:[0,0,1] neg_hi:[0,0,1]
	v_pk_add_f32 v[44:45], v[86:87], v[44:45]
	v_mov_b32_e32 v13, v15
	v_pk_fma_f32 v[64:65], v[128:129], s[30:31], v[64:65] neg_lo:[0,0,1] neg_hi:[0,0,1]
	v_pk_add_f32 v[12:13], v[12:13], v[44:45]
	v_mov_b32_e32 v14, v79
	v_mov_b32_e32 v15, v16
	v_pk_add_f32 v[12:13], v[40:41], v[12:13]
	v_mov_b32_e32 v40, v91
	v_mov_b32_e32 v41, v64
	v_pk_add_f32 v[14:15], v[36:37], v[14:15] op_sel:[1,0] op_sel_hi:[0,1]
	v_mov_b32_e32 v19, v110
	v_mov_b32_e32 v110, v94
	;; [unrolled: 1-line block ×3, first 2 shown]
	v_pk_add_f32 v[14:15], v[40:41], v[14:15]
	v_pk_fma_f32 v[88:89], v[128:129], s[26:27], v[88:89] neg_lo:[0,0,1] neg_hi:[0,0,1]
	v_pk_add_f32 v[14:15], v[110:111], v[14:15]
	v_mov_b32_e32 v16, v43
	v_pk_add_f32 v[8:9], v[8:9], v[14:15]
	v_mov_b32_e32 v17, v74
	v_pk_add_f32 v[40:41], v[18:19], v[8:9]
	v_pk_fma_f32 v[8:9], v[48:49], s[0:1], v[50:51] neg_lo:[0,0,1] neg_hi:[0,0,1]
	v_pk_fma_f32 v[14:15], v[84:85], s[28:29], v[124:125] neg_lo:[0,0,1] neg_hi:[0,0,1]
	v_mov_b32_e32 v47, v9
	v_pk_fma_f32 v[8:9], v[58:59], s[34:35], v[150:151] neg_lo:[0,0,1] neg_hi:[0,0,1]
	v_mov_b32_e32 v42, v77
	v_mov_b32_e32 v153, v9
	;; [unrolled: 1-line block ×3, first 2 shown]
	v_pk_add_f32 v[16:17], v[36:37], v[16:17] op_sel:[1,0] op_sel_hi:[0,1]
	v_pk_add_f32 v[8:9], v[36:37], v[152:153]
	v_mov_b32_e32 v155, v15
	v_mov_b32_e32 v113, v109
	v_pk_add_f32 v[16:17], v[42:43], v[16:17]
	v_pk_add_f32 v[8:9], v[154:155], v[8:9]
	;; [unrolled: 1-line block ×3, first 2 shown]
	v_mov_b32_e32 v53, v55
	v_pk_add_f32 v[8:9], v[46:47], v[8:9]
	v_pk_add_f32 v[10:11], v[10:11], v[16:17] op_sel:[0,1] op_sel_hi:[1,0]
	v_pk_add_f32 v[8:9], v[52:53], v[8:9]
	v_mov_b32_e32 v83, v81
	v_pk_add_f32 v[10:11], v[38:39], v[10:11]
	v_pk_add_f32 v[8:9], v[82:83], v[8:9]
	ds_write2_b64 v141, v[12:13], v[8:9] offset0:52 offset1:65
	v_mov_b32_e32 v8, v41
	v_mov_b32_e32 v9, v11
	ds_write2_b64 v141, v[0:1], v[8:9] offset0:78 offset1:91
	v_mov_b32_e32 v8, v10
	v_mov_b32_e32 v9, v40
	;; [unrolled: 1-line block ×3, first 2 shown]
	ds_write2_b64 v141, v[8:9], v[6:7] offset0:104 offset1:117
	v_pk_add_f32 v[8:9], v[36:37], v[72:73]
	v_mov_b32_e32 v12, v131
	v_mov_b32_e32 v13, v135
	v_pk_add_f32 v[8:9], v[12:13], v[8:9]
	v_mov_b32_e32 v131, v134
	v_pk_add_f32 v[8:9], v[130:131], v[8:9]
	v_mov_b32_e32 v12, v3
	v_mov_b32_e32 v13, v5
	v_pk_add_f32 v[8:9], v[12:13], v[8:9]
	v_mov_b32_e32 v3, v4
	v_pk_add_f32 v[8:9], v[2:3], v[8:9]
	ds_write_b64 v141, v[8:9] offset:1040
	s_waitcnt lgkmcnt(0)
	s_barrier
	ds_read2_b64 v[12:15], v139 offset1:143
	ds_read2_b64 v[36:39], v63 offset0:30 offset1:173
	ds_read2_b64 v[16:19], v138 offset0:60 offset1:203
                                        ; implicit-def: $vgpr42_vgpr43
	s_and_saveexec_b64 s[0:1], s[4:5]
	s_xor_b64 s[0:1], exec, s[0:1]
; %bb.18:
	v_mov_b32_e32 v42, v9
	v_mov_b32_e32 v43, v71
	;; [unrolled: 1-line block ×3, first 2 shown]
                                        ; implicit-def: $vgpr139
; %bb.19:
	s_or_saveexec_b64 s[0:1], s[0:1]
	v_mov_b32_e32 v46, v22
	v_mov_b32_e32 v47, v22
	;; [unrolled: 1-line block ×6, first 2 shown]
	s_xor_b64 exec, exec, s[0:1]
	s_cbranch_execz .LBB0_21
; %bb.20:
	v_add_u32_e32 v0, 0x1400, v139
	ds_read2_b64 v[8:11], v0 offset0:10 offset1:153
	v_add_u32_e32 v0, 0x800, v139
	ds_read2_b64 v[4:7], v0 offset0:108 offset1:251
	ds_read2_b64 v[0:3], v139 offset0:78 offset1:221
	s_waitcnt lgkmcnt(2)
	v_mov_b32_e32 v42, v9
	v_mov_b32_e32 v43, v11
	;; [unrolled: 1-line block ×3, first 2 shown]
	s_waitcnt lgkmcnt(1)
	v_mov_b32_e32 v10, v4
	s_waitcnt lgkmcnt(0)
	v_mov_b32_e32 v11, v3
	v_mov_b32_e32 v40, v5
	;; [unrolled: 1-line block ×3, first 2 shown]
.LBB0_21:
	s_or_b64 exec, exec, s[0:1]
	v_mov_b32_e32 v4, v27
	s_waitcnt lgkmcnt(2)
	v_pk_mul_f32 v[2:3], v[24:25], v[14:15] op_sel:[1,0]
	s_waitcnt lgkmcnt(1)
	v_pk_mul_f32 v[4:5], v[4:5], v[36:37] op_sel_hi:[0,1]
	v_pk_mul_f32 v[48:49], v[20:21], v[38:39] op_sel:[1,0]
	v_pk_fma_f32 v[52:53], v[24:25], v[14:15], v[2:3] op_sel:[0,0,1] op_sel_hi:[0,1,0]
	v_pk_fma_f32 v[2:3], v[24:25], v[14:15], v[2:3] op_sel:[0,0,1] op_sel_hi:[0,1,0] neg_lo:[0,0,1] neg_hi:[0,0,1]
	v_pk_fma_f32 v[14:15], v[26:27], v[36:37], v[4:5] op_sel:[0,0,1] op_sel_hi:[1,1,0]
	v_pk_fma_f32 v[4:5], v[26:27], v[36:37], v[4:5] op_sel:[0,0,1] op_sel_hi:[0,1,0] neg_lo:[0,0,1] neg_hi:[0,0,1]
	s_waitcnt lgkmcnt(0)
	v_pk_mul_f32 v[22:23], v[22:23], v[16:17]
	v_mov_b32_e32 v15, v5
	v_pk_fma_f32 v[4:5], v[20:21], v[38:39], v[48:49] op_sel:[0,0,1] op_sel_hi:[1,1,0]
	v_pk_fma_f32 v[20:21], v[20:21], v[38:39], v[48:49] op_sel:[0,0,1] op_sel_hi:[0,1,0] neg_lo:[0,0,1] neg_hi:[0,0,1]
	v_pk_mul_f32 v[50:51], v[66:67], v[18:19]
	v_mov_b32_e32 v5, v21
	v_pk_fma_f32 v[20:21], v[46:47], v[16:17], v[22:23] op_sel:[0,0,1] op_sel_hi:[1,1,0]
	v_pk_fma_f32 v[16:17], v[46:47], v[16:17], v[22:23] op_sel:[0,0,1] op_sel_hi:[1,1,0] neg_lo:[0,0,1] neg_hi:[0,0,1]
	s_mov_b32 s4, 0.5
	v_mov_b32_e32 v21, v17
	v_pk_fma_f32 v[16:17], v[44:45], v[18:19], v[50:51] op_sel:[0,0,1] op_sel_hi:[1,1,0]
	v_pk_fma_f32 v[18:19], v[44:45], v[18:19], v[50:51] op_sel:[0,0,1] op_sel_hi:[1,1,0] neg_lo:[0,0,1] neg_hi:[0,0,1]
	v_mov_b32_e32 v53, v3
	v_mov_b32_e32 v17, v19
	v_pk_add_f32 v[22:23], v[4:5], v[16:17]
	s_mov_b32 s5, 0x3f5db3d7
	v_pk_add_f32 v[18:19], v[12:13], v[14:15]
	v_mov_b32_e32 v2, v52
	v_pk_add_f32 v[24:25], v[4:5], v[16:17] neg_lo:[0,1] neg_hi:[0,1]
	v_pk_add_f32 v[4:5], v[52:53], v[4:5]
	v_fmac_f32_e32 v3, -0.5, v23
	v_pk_add_f32 v[26:27], v[14:15], v[20:21]
	v_pk_add_f32 v[14:15], v[14:15], v[20:21] neg_lo:[0,1] neg_hi:[0,1]
	s_mov_b32 s14, s5
	v_fmac_f32_e32 v2, -0.5, v22
	v_pk_add_f32 v[4:5], v[4:5], v[16:17]
	v_fmamk_f32 v16, v24, 0x3f5db3d7, v3
	v_pk_mul_f32 v[14:15], v[14:15], s[14:15] op_sel_hi:[1,0]
	s_mov_b32 s15, s4
	v_fmamk_f32 v22, v25, 0xbf5db3d7, v2
	v_pk_fma_f32 v[12:13], -0.5, v[26:27], v[12:13] op_sel_hi:[0,1,1]
	v_pk_mul_f32 v[16:17], v[16:17], s[14:15] op_sel_hi:[0,1]
	v_pk_add_f32 v[18:19], v[18:19], v[20:21]
	v_pk_add_f32 v[20:21], v[12:13], v[14:15] op_sel:[0,1] op_sel_hi:[1,0] neg_lo:[0,1] neg_hi:[0,1]
	v_pk_add_f32 v[12:13], v[12:13], v[14:15] op_sel:[0,1] op_sel_hi:[1,0]
	v_pk_fma_f32 v[26:27], v[22:23], s[4:5], v[16:17] neg_lo:[0,0,1] neg_hi:[0,0,1]
	v_pk_fma_f32 v[16:17], v[22:23], s[4:5], v[16:17] op_sel_hi:[0,1,1]
	v_mov_b32_e32 v14, v20
	v_mov_b32_e32 v15, v13
	;; [unrolled: 1-line block ×3, first 2 shown]
	v_fmac_f32_e32 v2, 0x3f5db3d7, v25
	v_fmac_f32_e32 v3, 0xbf5db3d7, v24
	v_pk_add_f32 v[24:25], v[18:19], v[4:5]
	v_pk_add_f32 v[16:17], v[14:15], v[26:27]
	ds_write2_b64 v140, v[24:25], v[16:17] offset1:143
	v_mov_b32_e32 v16, v3
	s_mov_b32 s0, -0.5
	s_mov_b32 s1, s5
	v_pk_mul_f32 v[16:17], v[16:17], s[14:15] op_sel_hi:[0,1]
	v_pk_fma_f32 v[16:17], v[2:3], s[0:1], v[16:17] op_sel_hi:[0,1,1] neg_lo:[0,0,1] neg_hi:[0,0,1]
	v_mov_b32_e32 v13, v21
	v_pk_add_f32 v[20:21], v[12:13], v[16:17]
	v_pk_add_f32 v[4:5], v[18:19], v[4:5] neg_lo:[0,1] neg_hi:[0,1]
	v_add_u32_e32 v2, 0x800, v140
	ds_write2_b64 v2, v[20:21], v[4:5] offset0:30 offset1:173
	v_pk_add_f32 v[4:5], v[14:15], v[26:27] neg_lo:[0,1] neg_hi:[0,1]
	v_pk_add_f32 v[12:13], v[12:13], v[16:17] neg_lo:[0,1] neg_hi:[0,1]
	v_add_u32_e32 v3, 0x1000, v140
	ds_write2_b64 v3, v[4:5], v[12:13] offset0:60 offset1:203
	s_and_saveexec_b64 s[18:19], s[2:3]
	s_cbranch_execz .LBB0_23
; %bb.22:
	v_mov_b32_e32 v12, v31
	v_mov_b32_e32 v15, v31
	;; [unrolled: 1-line block ×8, first 2 shown]
	v_pk_mul_f32 v[8:9], v[30:31], v[8:9]
	v_pk_mul_f32 v[30:31], v[28:29], v[6:7]
	v_mov_b32_e32 v4, v33
	v_mov_b32_e32 v5, v34
	;; [unrolled: 1-line block ×5, first 2 shown]
	v_pk_mul_f32 v[14:15], v[14:15], v[24:25]
	v_mov_b32_e32 v24, v34
	v_mov_b32_e32 v30, v31
	;; [unrolled: 1-line block ×6, first 2 shown]
	v_pk_mul_f32 v[18:19], v[32:33], v[18:19]
	v_mov_b32_e32 v25, v32
	v_mov_b32_e32 v26, v35
	;; [unrolled: 1-line block ×3, first 2 shown]
	v_pk_fma_f32 v[30:31], v[28:29], v[6:7], v[30:31]
	v_mov_b32_e32 v32, v7
	v_pk_mul_f32 v[6:7], v[34:35], v[6:7]
	v_mov_b32_e32 v20, v68
	v_mov_b32_e32 v23, v42
	v_pk_mul_f32 v[26:27], v[26:27], v[40:41]
	v_pk_fma_f32 v[6:7], v[28:29], v[32:33], v[6:7] neg_lo:[0,0,1] neg_hi:[0,0,1]
	v_pk_fma_f32 v[28:29], v[4:5], v[16:17], v[18:19]
	v_pk_fma_f32 v[4:5], v[4:5], v[16:17], v[18:19] neg_lo:[0,0,1] neg_hi:[0,0,1]
	v_pk_fma_f32 v[18:19], v[12:13], v[42:43], v[8:9]
	;; [unrolled: 2-line block ×3, first 2 shown]
	v_pk_fma_f32 v[12:13], v[24:25], v[10:11], v[26:27]
	v_pk_fma_f32 v[10:11], v[24:25], v[10:11], v[26:27] neg_lo:[0,0,1] neg_hi:[0,0,1]
	v_add_f32_e32 v7, v6, v9
	v_pk_fma_f32 v[14:15], v[20:21], v[22:23], v[14:15] neg_lo:[0,0,1] neg_hi:[0,0,1]
	v_mov_b32_e32 v13, v11
	v_add_f32_e32 v3, v30, v16
	v_mov_b32_e32 v4, v28
	v_fmac_f32_e32 v11, -0.5, v7
	v_sub_f32_e32 v7, v30, v16
	v_mov_b32_e32 v20, v0
	v_mov_b32_e32 v21, v6
	;; [unrolled: 1-line block ×3, first 2 shown]
	v_fmac_f32_e32 v4, -0.5, v3
	v_sub_f32_e32 v3, v6, v9
	v_fmamk_f32 v10, v7, 0xbf5db3d7, v11
	v_fmac_f32_e32 v11, 0x3f5db3d7, v7
	v_pk_add_f32 v[6:7], v[12:13], v[20:21]
	v_mov_b32_e32 v13, v5
	v_pk_add_f32 v[6:7], v[18:19], v[6:7]
	v_mov_b32_e32 v19, v15
	;; [unrolled: 2-line block ×3, first 2 shown]
	v_pk_fma_f32 v[0:1], -0.5, v[22:23], v[0:1] op_sel_hi:[0,1,1]
	v_mov_b32_e32 v22, v5
	v_mov_b32_e32 v23, v12
	;; [unrolled: 1-line block ×4, first 2 shown]
	v_pk_add_f32 v[12:13], v[22:23], v[12:13] neg_lo:[0,1] neg_hi:[0,1]
	s_mov_b32 s2, s5
	v_mov_b32_e32 v17, v15
	v_pk_fma_f32 v[14:15], v[12:13], s[2:3], v[0:1] op_sel_hi:[1,0,1] neg_lo:[1,0,0] neg_hi:[1,0,0]
	v_pk_fma_f32 v[0:1], v[12:13], s[2:3], v[0:1] op_sel_hi:[1,0,1]
	v_mov_b32_e32 v12, v14
	v_mov_b32_e32 v14, v11
	;; [unrolled: 1-line block ×3, first 2 shown]
	v_fmamk_f32 v8, v3, 0x3f5db3d7, v4
	v_fmac_f32_e32 v4, 0xbf5db3d7, v3
	v_pk_mul_f32 v[18:19], v[14:15], s[14:15] op_sel_hi:[0,1]
	v_pk_add_f32 v[20:21], v[28:29], v[30:31]
	v_pk_fma_f32 v[22:23], v[4:5], s[4:5], v[18:19] neg_lo:[0,0,1] neg_hi:[0,0,1]
	v_pk_fma_f32 v[4:5], v[4:5], s[4:5], v[18:19] op_sel_hi:[0,1,1]
	v_pk_add_f32 v[16:17], v[20:21], v[16:17]
	v_mov_b32_e32 v13, v1
	v_mov_b32_e32 v23, v5
	v_pk_add_f32 v[20:21], v[6:7], v[16:17]
	v_pk_add_f32 v[4:5], v[12:13], v[22:23]
	ds_write2_b64 v140, v[20:21], v[4:5] offset0:78 offset1:221
	v_pk_mul_f32 v[4:5], v[10:11], s[14:15] op_sel_hi:[0,1]
	v_pk_fma_f32 v[4:5], v[8:9], s[0:1], v[4:5] op_sel_hi:[0,1,1] neg_lo:[0,0,1] neg_hi:[0,0,1]
	v_mov_b32_e32 v1, v15
	v_mov_b32_e32 v10, v6
	;; [unrolled: 1-line block ×4, first 2 shown]
	v_pk_add_f32 v[8:9], v[0:1], v[4:5]
	v_pk_add_f32 v[6:7], v[10:11], v[16:17] neg_lo:[0,1] neg_hi:[0,1]
	ds_write2_b64 v2, v[8:9], v[6:7] offset0:108 offset1:251
	v_pk_add_f32 v[2:3], v[12:13], v[22:23] neg_lo:[0,1] neg_hi:[0,1]
	v_pk_add_f32 v[0:1], v[0:1], v[4:5] neg_lo:[0,1] neg_hi:[0,1]
	v_add_u32_e32 v4, 0x1400, v140
	ds_write2_b64 v4, v[2:3], v[0:1] offset0:10 offset1:153
.LBB0_23:
	s_or_b64 exec, exec, s[18:19]
	s_waitcnt lgkmcnt(0)
	s_barrier
	s_and_b64 exec, exec, s[6:7]
	s_cbranch_execz .LBB0_25
; %bb.24:
	global_load_dwordx2 v[8:9], v62, s[12:13]
	global_load_dwordx2 v[10:11], v62, s[12:13] offset:528
	global_load_dwordx2 v[12:13], v62, s[12:13] offset:1056
	;; [unrolled: 1-line block ×4, first 2 shown]
	ds_read_b64 v[20:21], v140
	ds_read2_b64 v[0:3], v140 offset0:66 offset1:132
	global_load_dwordx2 v[26:27], v62, s[12:13] offset:2640
	global_load_dwordx2 v[28:29], v62, s[12:13] offset:3168
	;; [unrolled: 1-line block ×3, first 2 shown]
	v_mad_u64_u32 v[18:19], s[0:1], s10, v60, 0
	v_mov_b32_e32 v63, 0
	v_mad_u64_u32 v[22:23], s[2:3], s8, v61, 0
	s_movk_i32 s3, 0x1000
	v_mov_b32_e32 v32, v19
	v_lshl_add_u64 v[34:35], s[12:13], 0, v[62:63]
	v_mad_u64_u32 v[32:33], s[4:5], s11, v60, v[32:33]
	v_add_co_u32_e32 v34, vcc, s3, v34
	v_mov_b32_e32 v19, v32
	s_nop 0
	v_addc_co_u32_e32 v35, vcc, 0, v35, vcc
	v_add_u32_e32 v4, 0x400, v140
	ds_read2_b64 v[4:7], v4 offset0:70 offset1:136
	v_mov_b32_e32 v36, v23
	v_mov_b32_e32 v16, s16
	;; [unrolled: 1-line block ×3, first 2 shown]
	v_mad_u64_u32 v[36:37], s[4:5], s9, v61, v[36:37]
	v_mov_b32_e32 v23, v36
	v_lshl_add_u64 v[16:17], v[18:19], 3, v[16:17]
	s_mov_b32 s0, 0x58e9ebb6
	v_mov_b32_e32 v38, 0x210
	v_lshl_add_u64 v[16:17], v[22:23], 3, v[16:17]
	s_mov_b32 s1, 0x3f531877
	s_mul_i32 s2, s9, 0x210
	v_mad_u64_u32 v[18:19], s[4:5], s8, v38, v[16:17]
	v_add_u32_e32 v19, s2, v19
	v_mad_u64_u32 v[22:23], s[4:5], s8, v38, v[18:19]
	v_add_u32_e32 v23, s2, v23
	s_waitcnt vmcnt(7) lgkmcnt(2)
	v_mul_f32_e32 v32, v21, v9
	v_mul_f32_e32 v9, v20, v9
	v_fmac_f32_e32 v32, v20, v8
	v_fma_f32 v8, v8, v21, -v9
	global_load_dwordx2 v[20:21], v[34:35], off offset:128
	s_waitcnt vmcnt(7) lgkmcnt(1)
	v_mul_f32_e32 v33, v1, v11
	v_mul_f32_e32 v11, v0, v11
	s_waitcnt vmcnt(6)
	v_mul_f32_e32 v36, v3, v13
	v_mul_f32_e32 v13, v2, v13
	s_waitcnt vmcnt(5) lgkmcnt(0)
	v_mul_f32_e32 v37, v5, v15
	v_mul_f32_e32 v15, v4, v15
	v_fmac_f32_e32 v33, v0, v10
	v_fma_f32 v9, v10, v1, -v11
	v_fmac_f32_e32 v36, v2, v12
	v_fma_f32 v12, v12, v3, -v13
	v_cvt_f64_f32_e32 v[0:1], v32
	v_cvt_f64_f32_e32 v[2:3], v8
	v_fmac_f32_e32 v37, v4, v14
	v_fma_f32 v39, v14, v5, -v15
	v_cvt_f64_f32_e32 v[4:5], v33
	v_cvt_f64_f32_e32 v[8:9], v9
	;; [unrolled: 1-line block ×4, first 2 shown]
	v_mul_f64 v[0:1], v[0:1], s[0:1]
	v_mul_f64 v[2:3], v[2:3], s[0:1]
	;; [unrolled: 1-line block ×6, first 2 shown]
	v_cvt_f32_f64_e32 v0, v[0:1]
	v_cvt_f32_f64_e32 v1, v[2:3]
	;; [unrolled: 1-line block ×6, first 2 shown]
	global_store_dwordx2 v[16:17], v[0:1], off
	global_store_dwordx2 v[18:19], v[2:3], off
	;; [unrolled: 1-line block ×3, first 2 shown]
	v_cvt_f64_f32_e32 v[0:1], v39
	v_mul_f64 v[0:1], v[0:1], s[0:1]
	v_cvt_f32_f64_e32 v9, v[0:1]
	global_load_dwordx2 v[10:11], v[34:35], off offset:656
	s_waitcnt vmcnt(8)
	v_mul_f32_e32 v0, v7, v25
	v_cvt_f64_f32_e32 v[14:15], v37
	v_fmac_f32_e32 v0, v6, v24
	v_mul_f64 v[14:15], v[14:15], s[0:1]
	v_mad_u64_u32 v[4:5], s[4:5], s8, v38, v[22:23]
	v_cvt_f64_f32_e32 v[0:1], v0
	v_cvt_f32_f64_e32 v8, v[14:15]
	v_add_u32_e32 v5, s2, v5
	v_mul_f64 v[0:1], v[0:1], s[0:1]
	global_store_dwordx2 v[4:5], v[8:9], off
	v_cvt_f32_f64_e32 v8, v[0:1]
	v_mul_f32_e32 v0, v6, v25
	v_fma_f32 v0, v24, v7, -v0
	global_load_dwordx2 v[6:7], v[34:35], off offset:1184
	global_load_dwordx2 v[12:13], v[34:35], off offset:1712
	v_cvt_f64_f32_e32 v[0:1], v0
	v_mul_f64 v[0:1], v[0:1], s[0:1]
	v_cvt_f32_f64_e32 v9, v[0:1]
	v_add_u32_e32 v0, 0x800, v140
	ds_read2_b64 v[0:3], v0 offset0:74 offset1:140
	v_mad_u64_u32 v[4:5], s[4:5], s8, v38, v[4:5]
	v_add_u32_e32 v5, s2, v5
	global_store_dwordx2 v[4:5], v[8:9], off
	s_waitcnt vmcnt(11) lgkmcnt(0)
	v_mul_f32_e32 v8, v1, v27
	v_fmac_f32_e32 v8, v0, v26
	v_mul_f32_e32 v0, v0, v27
	v_fma_f32 v0, v26, v1, -v0
	v_cvt_f64_f32_e32 v[8:9], v8
	v_cvt_f64_f32_e32 v[0:1], v0
	v_mul_f64 v[8:9], v[8:9], s[0:1]
	v_mul_f64 v[0:1], v[0:1], s[0:1]
	v_cvt_f32_f64_e32 v8, v[8:9]
	v_cvt_f32_f64_e32 v9, v[0:1]
	s_waitcnt vmcnt(10)
	v_mul_f32_e32 v0, v3, v29
	v_fmac_f32_e32 v0, v2, v28
	v_mad_u64_u32 v[4:5], s[4:5], s8, v38, v[4:5]
	v_cvt_f64_f32_e32 v[0:1], v0
	v_add_u32_e32 v5, s2, v5
	v_mul_f64 v[0:1], v[0:1], s[0:1]
	global_store_dwordx2 v[4:5], v[8:9], off
	v_cvt_f32_f64_e32 v8, v[0:1]
	v_mul_f32_e32 v0, v2, v29
	v_fma_f32 v0, v28, v3, -v0
	v_cvt_f64_f32_e32 v[0:1], v0
	v_mul_f64 v[0:1], v[0:1], s[0:1]
	v_cvt_f32_f64_e32 v9, v[0:1]
	v_add_u32_e32 v0, 0xc00, v140
	ds_read2_b64 v[0:3], v0 offset0:78 offset1:144
	v_mad_u64_u32 v[4:5], s[4:5], s8, v38, v[4:5]
	v_add_u32_e32 v5, s2, v5
	global_store_dwordx2 v[4:5], v[8:9], off
	s_waitcnt vmcnt(11) lgkmcnt(0)
	v_mul_f32_e32 v8, v1, v31
	v_fmac_f32_e32 v8, v0, v30
	v_mul_f32_e32 v0, v0, v31
	v_fma_f32 v0, v30, v1, -v0
	v_cvt_f64_f32_e32 v[8:9], v8
	v_cvt_f64_f32_e32 v[0:1], v0
	v_mul_f64 v[8:9], v[8:9], s[0:1]
	v_mul_f64 v[0:1], v[0:1], s[0:1]
	v_cvt_f32_f64_e32 v8, v[8:9]
	v_cvt_f32_f64_e32 v9, v[0:1]
	s_waitcnt vmcnt(10)
	v_mul_f32_e32 v0, v3, v21
	v_fmac_f32_e32 v0, v2, v20
	v_mad_u64_u32 v[4:5], s[4:5], s8, v38, v[4:5]
	v_cvt_f64_f32_e32 v[0:1], v0
	v_add_u32_e32 v5, s2, v5
	v_mul_f64 v[0:1], v[0:1], s[0:1]
	global_store_dwordx2 v[4:5], v[8:9], off
	v_cvt_f32_f64_e32 v8, v[0:1]
	v_mul_f32_e32 v0, v2, v21
	v_fma_f32 v0, v20, v3, -v0
	;; [unrolled: 30-line block ×3, first 2 shown]
	v_cvt_f64_f32_e32 v[0:1], v0
	v_mul_f64 v[0:1], v[0:1], s[0:1]
	v_cvt_f32_f64_e32 v9, v[0:1]
	v_add_u32_e32 v0, 0x1400, v140
	ds_read2_b64 v[0:3], v0 offset0:86 offset1:152
	v_mad_u64_u32 v[4:5], s[4:5], s8, v38, v[4:5]
	v_add_u32_e32 v5, s2, v5
	global_store_dwordx2 v[4:5], v[8:9], off
	s_waitcnt vmcnt(7) lgkmcnt(0)
	v_mul_f32_e32 v6, v1, v13
	v_fmac_f32_e32 v6, v0, v12
	v_mul_f32_e32 v0, v0, v13
	v_fma_f32 v0, v12, v1, -v0
	v_cvt_f64_f32_e32 v[6:7], v6
	v_cvt_f64_f32_e32 v[0:1], v0
	v_mul_f64 v[6:7], v[6:7], s[0:1]
	v_mul_f64 v[0:1], v[0:1], s[0:1]
	v_cvt_f32_f64_e32 v6, v[6:7]
	v_cvt_f32_f64_e32 v7, v[0:1]
	v_mad_u64_u32 v[0:1], s[4:5], s8, v38, v[4:5]
	v_add_u32_e32 v1, s2, v1
	global_store_dwordx2 v[0:1], v[6:7], off
	global_load_dwordx2 v[4:5], v[34:35], off offset:2240
	s_waitcnt vmcnt(0)
	v_mul_f32_e32 v6, v3, v5
	v_fmac_f32_e32 v6, v2, v4
	v_mul_f32_e32 v2, v2, v5
	v_fma_f32 v2, v4, v3, -v2
	v_cvt_f64_f32_e32 v[6:7], v6
	v_cvt_f64_f32_e32 v[2:3], v2
	v_mul_f64 v[6:7], v[6:7], s[0:1]
	v_mul_f64 v[2:3], v[2:3], s[0:1]
	v_mad_u64_u32 v[0:1], s[0:1], s8, v38, v[0:1]
	v_cvt_f32_f64_e32 v6, v[6:7]
	v_cvt_f32_f64_e32 v7, v[2:3]
	v_add_u32_e32 v1, s2, v1
	global_store_dwordx2 v[0:1], v[6:7], off
.LBB0_25:
	s_endpgm
	.section	.rodata,"a",@progbits
	.p2align	6, 0x0
	.amdhsa_kernel bluestein_single_fwd_len858_dim1_sp_op_CI_CI
		.amdhsa_group_segment_fixed_size 20592
		.amdhsa_private_segment_fixed_size 0
		.amdhsa_kernarg_size 104
		.amdhsa_user_sgpr_count 2
		.amdhsa_user_sgpr_dispatch_ptr 0
		.amdhsa_user_sgpr_queue_ptr 0
		.amdhsa_user_sgpr_kernarg_segment_ptr 1
		.amdhsa_user_sgpr_dispatch_id 0
		.amdhsa_user_sgpr_kernarg_preload_length 0
		.amdhsa_user_sgpr_kernarg_preload_offset 0
		.amdhsa_user_sgpr_private_segment_size 0
		.amdhsa_uses_dynamic_stack 0
		.amdhsa_enable_private_segment 0
		.amdhsa_system_sgpr_workgroup_id_x 1
		.amdhsa_system_sgpr_workgroup_id_y 0
		.amdhsa_system_sgpr_workgroup_id_z 0
		.amdhsa_system_sgpr_workgroup_info 0
		.amdhsa_system_vgpr_workitem_id 0
		.amdhsa_next_free_vgpr 206
		.amdhsa_next_free_sgpr 58
		.amdhsa_accum_offset 208
		.amdhsa_reserve_vcc 1
		.amdhsa_float_round_mode_32 0
		.amdhsa_float_round_mode_16_64 0
		.amdhsa_float_denorm_mode_32 3
		.amdhsa_float_denorm_mode_16_64 3
		.amdhsa_dx10_clamp 1
		.amdhsa_ieee_mode 1
		.amdhsa_fp16_overflow 0
		.amdhsa_tg_split 0
		.amdhsa_exception_fp_ieee_invalid_op 0
		.amdhsa_exception_fp_denorm_src 0
		.amdhsa_exception_fp_ieee_div_zero 0
		.amdhsa_exception_fp_ieee_overflow 0
		.amdhsa_exception_fp_ieee_underflow 0
		.amdhsa_exception_fp_ieee_inexact 0
		.amdhsa_exception_int_div_zero 0
	.end_amdhsa_kernel
	.text
.Lfunc_end0:
	.size	bluestein_single_fwd_len858_dim1_sp_op_CI_CI, .Lfunc_end0-bluestein_single_fwd_len858_dim1_sp_op_CI_CI
                                        ; -- End function
	.section	.AMDGPU.csdata,"",@progbits
; Kernel info:
; codeLenInByte = 16112
; NumSgprs: 64
; NumVgprs: 206
; NumAgprs: 0
; TotalNumVgprs: 206
; ScratchSize: 0
; MemoryBound: 0
; FloatMode: 240
; IeeeMode: 1
; LDSByteSize: 20592 bytes/workgroup (compile time only)
; SGPRBlocks: 7
; VGPRBlocks: 25
; NumSGPRsForWavesPerEU: 64
; NumVGPRsForWavesPerEU: 206
; AccumOffset: 208
; Occupancy: 2
; WaveLimiterHint : 1
; COMPUTE_PGM_RSRC2:SCRATCH_EN: 0
; COMPUTE_PGM_RSRC2:USER_SGPR: 2
; COMPUTE_PGM_RSRC2:TRAP_HANDLER: 0
; COMPUTE_PGM_RSRC2:TGID_X_EN: 1
; COMPUTE_PGM_RSRC2:TGID_Y_EN: 0
; COMPUTE_PGM_RSRC2:TGID_Z_EN: 0
; COMPUTE_PGM_RSRC2:TIDIG_COMP_CNT: 0
; COMPUTE_PGM_RSRC3_GFX90A:ACCUM_OFFSET: 51
; COMPUTE_PGM_RSRC3_GFX90A:TG_SPLIT: 0
	.text
	.p2alignl 6, 3212836864
	.fill 256, 4, 3212836864
	.type	__hip_cuid_92ec56f6eab40534,@object ; @__hip_cuid_92ec56f6eab40534
	.section	.bss,"aw",@nobits
	.globl	__hip_cuid_92ec56f6eab40534
__hip_cuid_92ec56f6eab40534:
	.byte	0                               ; 0x0
	.size	__hip_cuid_92ec56f6eab40534, 1

	.ident	"AMD clang version 19.0.0git (https://github.com/RadeonOpenCompute/llvm-project roc-6.4.0 25133 c7fe45cf4b819c5991fe208aaa96edf142730f1d)"
	.section	".note.GNU-stack","",@progbits
	.addrsig
	.addrsig_sym __hip_cuid_92ec56f6eab40534
	.amdgpu_metadata
---
amdhsa.kernels:
  - .agpr_count:     0
    .args:
      - .actual_access:  read_only
        .address_space:  global
        .offset:         0
        .size:           8
        .value_kind:     global_buffer
      - .actual_access:  read_only
        .address_space:  global
        .offset:         8
        .size:           8
        .value_kind:     global_buffer
      - .actual_access:  read_only
        .address_space:  global
        .offset:         16
        .size:           8
        .value_kind:     global_buffer
      - .actual_access:  read_only
        .address_space:  global
        .offset:         24
        .size:           8
        .value_kind:     global_buffer
      - .actual_access:  read_only
        .address_space:  global
        .offset:         32
        .size:           8
        .value_kind:     global_buffer
      - .offset:         40
        .size:           8
        .value_kind:     by_value
      - .address_space:  global
        .offset:         48
        .size:           8
        .value_kind:     global_buffer
      - .address_space:  global
        .offset:         56
        .size:           8
        .value_kind:     global_buffer
      - .address_space:  global
        .offset:         64
        .size:           8
        .value_kind:     global_buffer
      - .address_space:  global
        .offset:         72
        .size:           8
        .value_kind:     global_buffer
      - .offset:         80
        .size:           4
        .value_kind:     by_value
      - .address_space:  global
        .offset:         88
        .size:           8
        .value_kind:     global_buffer
      - .address_space:  global
        .offset:         96
        .size:           8
        .value_kind:     global_buffer
    .group_segment_fixed_size: 20592
    .kernarg_segment_align: 8
    .kernarg_segment_size: 104
    .language:       OpenCL C
    .language_version:
      - 2
      - 0
    .max_flat_workgroup_size: 234
    .name:           bluestein_single_fwd_len858_dim1_sp_op_CI_CI
    .private_segment_fixed_size: 0
    .sgpr_count:     64
    .sgpr_spill_count: 0
    .symbol:         bluestein_single_fwd_len858_dim1_sp_op_CI_CI.kd
    .uniform_work_group_size: 1
    .uses_dynamic_stack: false
    .vgpr_count:     206
    .vgpr_spill_count: 0
    .wavefront_size: 64
amdhsa.target:   amdgcn-amd-amdhsa--gfx950
amdhsa.version:
  - 1
  - 2
...

	.end_amdgpu_metadata
